;; amdgpu-corpus repo=ROCm/aiter kind=harvested arch=n/a opt=n/a

/root/src/amdgpu-assembly/repos/ROCm__aiter/hsa/gfx942/pa/pa_bf16_pertokenFp8_gqa10_1tg_4w_qlen3_msk1.co:	file format elf64-amdgpu

Disassembly of section .text:

0000000000002100 <_ZN5aiter43pa_bf16_pertokenFp8_gqa10_1tg_4w_qlen3_msk1E>:
	s_and_b32 s1, s1, 0xffff                                   // 000000002100: 8601FF01 0000FFFF
	s_load_dwordx2 s[4:5], s[0:1], 0x0                         // 000000002108: C0060100 00000000
	s_load_dwordx2 s[8:9], s[0:1], 0x10                        // 000000002110: C0060200 00000010
	s_load_dwordx2 s[12:13], s[0:1], 0x20                      // 000000002118: C0060300 00000020
	s_load_dwordx2 s[16:17], s[0:1], 0x30                      // 000000002120: C0060400 00000030
	s_load_dwordx2 s[20:21], s[0:1], 0x40                      // 000000002128: C0060500 00000040
	s_load_dwordx2 s[24:25], s[0:1], 0x50                      // 000000002130: C0060600 00000050
	s_load_dwordx2 s[28:29], s[0:1], 0x60                      // 000000002138: C0060700 00000060
	s_load_dwordx2 s[32:33], s[0:1], 0x70                      // 000000002140: C0060800 00000070
	s_load_dword s51, s[0:1], 0x80                             // 000000002148: C0020CC0 00000080
	s_load_dword s52, s[0:1], 0x90                             // 000000002150: C0020D00 00000090
	s_load_dword s53, s[0:1], 0xa0                             // 000000002158: C0020D40 000000A0
	s_load_dword s54, s[0:1], 0xb0                             // 000000002160: C0020D80 000000B0
	s_load_dword s56, s[0:1], 0xc0                             // 000000002168: C0020E00 000000C0
	s_load_dword s57, s[0:1], 0xd0                             // 000000002170: C0020E40 000000D0
	v_lshrrev_b32_e32 v1, 10, v0                               // 000000002178: 2002008A
	v_lshrrev_b32_e32 v2, 10, v1                               // 00000000217C: 2004028A
	v_and_b32_e32 v2, 0x3ff, v2                                // 000000002180: 260404FF 000003FF
	v_and_b32_e32 v1, 0x3ff, v1                                // 000000002188: 260202FF 000003FF
	v_and_b32_e32 v0, 0x3ff, v0                                // 000000002190: 260000FF 000003FF
	v_lshrrev_b32_e32 v3, 6, v0                                // 000000002198: 20060086
	v_and_b32_e32 v0, 63, v0                                   // 00000000219C: 260000BF
	s_mov_b32 s47, s2                                          // 0000000021A0: BEAF0002
	s_mov_b32 s48, s3                                          // 0000000021A4: BEB00003
	v_readfirstlane_b32 s46, v3                                // 0000000021A8: 7E5C0503
	s_mov_b32 s42, 0x7060302                                   // 0000000021AC: BEAA00FF 07060302
	s_mov_b32 s43, 0x400                                       // 0000000021B4: BEAB00FF 00000400
	s_mov_b32 s44, 0x40100                                     // 0000000021BC: BEAC00FF 00040100
	s_mov_b32 s45, 0x4020100                                   // 0000000021C4: BEAD00FF 04020100
	v_mov_b32_e32 v185, 0xffff0000                             // 0000000021CC: 7F7202FF FFFF0000
	v_mov_b32_e32 v186, 0x7fff0000                             // 0000000021D4: 7F7402FF 7FFF0000
	v_mov_b32_e32 v187, 0x7fff                                 // 0000000021DC: 7F7602FF 00007FFF
	v_mov_b32_e32 v191, 0xff800000                             // 0000000021E4: 7F7E02FF FF800000
	v_mov_b32_e32 v136, 0xff800000                             // 0000000021EC: 7F1002FF FF800000
	v_mov_b64_e32 v[140:141], 0                                // 0000000021F4: 7F187080
	v_mov_b32_e32 v144, 0                                      // 0000000021F8: 7F200280
	v_mov_b64_e32 v[132:133], 0                                // 0000000021FC: 7F087080
	v_mov_b32_e32 v137, 0xff800000                             // 000000002200: 7F1202FF FF800000
	v_mov_b64_e32 v[142:143], 0                                // 000000002208: 7F1C7080
	v_mov_b32_e32 v145, 0                                      // 00000000220C: 7F220280
	v_mov_b64_e32 v[134:135], 0                                // 000000002210: 7F0C7080
	s_waitcnt lgkmcnt(0)                                       // 000000002214: BF8CC07F
	s_mov_b32 s68, s51                                         // 000000002218: BEC40033
	s_mov_b32 s69, s51                                         // 00000000221C: BEC50033
	s_lshl_b32 s40, s48, 2                                     // 000000002220: 8E288230
	s_and_b32 s25, s25, 0xffff                                 // 000000002224: 8619FF19 0000FFFF
	s_add_u32 s24, s24, s40                                    // 00000000222C: 80182818
	s_addc_u32 s25, s25, 0                                     // 000000002230: 82198019
	s_load_dword s59, s[24:25], 0x0                            // 000000002234: C0020ECC 00000000
	s_mul_i32 s40, s48, s52                                    // 00000000223C: 92283430
	s_lshl_b32 s40, s40, 2                                     // 000000002240: 8E288228
	s_and_b32 s21, s21, 0xffff                                 // 000000002244: 8615FF15 0000FFFF
	s_add_u32 s20, s20, s40                                    // 00000000224C: 80142814
	s_addc_u32 s21, s21, 0                                     // 000000002250: 82158015
	s_load_dword s61, s[20:21], 0x0                            // 000000002254: C0020F4A 00000000
	s_mov_b32 s10, 0x80000000                                  // 00000000225C: BE8A00FF 80000000
	s_mov_b32 s11, 0x20000                                     // 000000002264: BE8B00FF 00020000
	s_and_b32 s9, s9, 0xffff                                   // 00000000226C: 8609FF09 0000FFFF
	s_or_b32 s9, s9, 0                                         // 000000002274: 87098009
	s_mov_b32 s6, 0x80000000                                   // 000000002278: BE8600FF 80000000
	s_mov_b32 s7, 0x20000                                      // 000000002280: BE8700FF 00020000
	s_and_b32 s5, s5, 0xffff                                   // 000000002288: 8605FF05 0000FFFF
	s_or_b32 s5, s5, 0                                         // 000000002290: 87058005
	s_mul_i32 s55, s54, 3                                      // 000000002294: 92378336
	s_mul_i32 s40, s48, s55                                    // 000000002298: 92283730
	s_mul_i32 s41, s47, 0xa00                                  // 00000000229C: 9229FF2F 00000A00
	s_add_u32 s40, s40, s41                                    // 0000000022A4: 80282928
	s_lshl_b32 s41, s54, 1                                     // 0000000022A8: 8E298136
	s_add_u32 s41, s41, 0xa00                                  // 0000000022AC: 8029FF29 00000A00
	s_add_u32 s8, s8, s40                                      // 0000000022B4: 80082808
	s_addc_u32 s9, s9, 0                                       // 0000000022B8: 82098009
	s_mov_b32 s10, s41                                         // 0000000022BC: BE8A0029
	s_mul_i32 s67, s53, 0xa00                                  // 0000000022C0: 9243FF35 00000A00
	s_mul_i32 s40, 3, s67                                      // 0000000022C8: 92284383
	s_mul_i32 s40, s40, s48                                    // 0000000022CC: 92283028
	s_mul_i32 s41, s47, 0xa00                                  // 0000000022D0: 9229FF2F 00000A00
	s_add_u32 s40, s40, s41                                    // 0000000022D8: 80282928
	s_lshl_b32 s41, s67, 1                                     // 0000000022DC: 8E298143
	s_add_u32 s41, s41, 0xa00                                  // 0000000022E0: 8029FF29 00000A00
	s_add_u32 s4, s4, s40                                      // 0000000022E8: 80042804
	s_addc_u32 s5, s5, 0                                       // 0000000022EC: 82058005
	s_mov_b32 s6, s41                                          // 0000000022F0: BE860029
	v_and_b32_e32 v183, 15, v0                                 // 0000000022F4: 276E008F
	v_lshlrev_b32_e32 v183, 4, v183                            // 0000000022F8: 256F6E84
	s_lshl_b32 s40, s46, 2                                     // 0000000022FC: 8E28822E
	v_lshrrev_b32_e32 v180, 4, v0                              // 000000002300: 21680084
	v_add_u32_e32 v180, s40, v180                              // 000000002304: 69696828
	v_add_u32_e32 v181, 16, v180                               // 000000002308: 696B6890
	v_mul_u32_u24_e32 v148, 13, v180                           // 00000000230C: 1129688D
	v_lshrrev_b32_e32 v148, 7, v148                            // 000000002310: 21292887
	v_mul_u32_u24_e32 v182, 10, v148                           // 000000002314: 116D288A
	v_sub_u32_e32 v182, v180, v182                             // 000000002318: 6B6D6DB4
	v_mul_u32_u24_e32 v182, 0x100, v182                        // 00000000231C: 116D6CFF 00000100
	v_mul_u32_u24_e32 v192, s54, v148                          // 000000002324: 11812836
	v_add3_u32 v192, v182, v192, v183                          // 000000002328: D1FF00C0 06DF81B6
	v_mul_u32_u24_e32 v194, s67, v148                          // 000000002330: 11852843
	v_add3_u32 v194, v182, v194, v183                          // 000000002334: D1FF00C2 06DF85B6
	v_mul_u32_u24_e32 v148, 13, v181                           // 00000000233C: 11296A8D
	v_lshrrev_b32_e32 v148, 7, v148                            // 000000002340: 21292887
	v_mul_u32_u24_e32 v182, 10, v148                           // 000000002344: 116D288A
	v_sub_u32_e32 v182, v181, v182                             // 000000002348: 6B6D6DB5
	v_mul_u32_u24_e32 v182, 0x100, v182                        // 00000000234C: 116D6CFF 00000100
	v_mul_u32_u24_e32 v193, s54, v148                          // 000000002354: 11832836
	v_add3_u32 v193, v182, v193, v183                          // 000000002358: D1FF00C1 06DF83B6
	v_mul_u32_u24_e32 v195, s67, v148                          // 000000002360: 11872843
	v_add3_u32 v195, v182, v195, v183                          // 000000002364: D1FF00C3 06DF87B6
	s_lshl_b32 s40, s46, 5                                     // 00000000236C: 8E28852E
	v_and_b32_e32 v180, 15, v0                                 // 000000002370: 2768008F
	v_mul_i32_i24_e32 v180, 0x90, v180                         // 000000002374: 0D6968FF 00000090
	v_lshrrev_b32_e32 v181, 4, v0                              // 00000000237C: 216A0084
	v_lshlrev_b32_e32 v181, 3, v181                            // 000000002380: 256B6A83
	v_add3_u32 v204, v180, v181, s40                           // 000000002384: D1FF00CC 00A36BB4
	v_and_b32_e32 v205, 15, v0                                 // 00000000238C: 279A008F
	v_lshlrev_b32_e32 v205, 3, v205                            // 000000002390: 259B9A83
	s_mul_i32 s40, s46, 0x240                                  // 000000002394: 9228FF2E 00000240
	v_lshrrev_b32_e32 v180, 4, v0                              // 00000000239C: 21680084
	v_lshlrev_b32_e32 v180, 7, v180                            // 0000000023A0: 25696887
	v_lshrrev_b32_e32 v181, 5, v0                              // 0000000023A4: 216A0085
	v_lshlrev_b32_e32 v181, 5, v181                            // 0000000023A8: 256B6A85
	v_and_b32_e32 v182, 15, v0                                 // 0000000023AC: 276C008F
	v_lshlrev_b32_e32 v182, 3, v182                            // 0000000023B0: 256D6C83
	v_add3_u32 v180, v180, v181, v182                          // 0000000023B4: D1FF00B4 06DB6BB4
	v_add_u32_e32 v206, s40, v180                              // 0000000023BC: 699D6828
	v_and_b32_e32 v180, 15, v0                                 // 0000000023C0: 2768008F
	v_lshlrev_b32_e32 v181, 7, v180                            // 0000000023C4: 256B6887
	v_lshrrev_b32_e32 v180, 1, v180                            // 0000000023C8: 21696881
	v_lshlrev_b32_e32 v180, 5, v180                            // 0000000023CC: 25696885
	v_lshrrev_b32_e32 v182, 4, v0                              // 0000000023D0: 216C0084
	v_lshlrev_b32_e32 v182, 4, v182                            // 0000000023D4: 256D6C84
	v_add3_u32 v207, v180, v181, v182                          // 0000000023D8: D1FF00CF 06DB6BB4
	s_mul_i32 s40, s46, 0x240                                  // 0000000023E0: 9228FF2E 00000240
	v_lshrrev_b32_e32 v180, 5, v0                              // 0000000023E8: 21680085
	v_mul_i32_i24_e32 v180, 0x120, v180                        // 0000000023EC: 0D6968FF 00000120
	v_lshrrev_b32_e32 v181, 4, v0                              // 0000000023F4: 216A0084
	v_and_b32_e32 v181, 1, v181                                // 0000000023F8: 276B6A81
	v_lshlrev_b32_e32 v181, 3, v181                            // 0000000023FC: 256B6A83
	v_and_b32_e32 v182, 15, v0                                 // 000000002400: 276C008F
	v_lshlrev_b32_e32 v182, 4, v182                            // 000000002404: 256D6C84
	v_add3_u32 v208, v180, v181, v182                          // 000000002408: D1FF00D0 06DB6BB4
	v_add_u32_e32 v208, s40, v208                              // 000000002410: 69A1A028
	s_lshl_b32 s40, s46, 6                                     // 000000002414: 8E28862E
	v_lshrrev_b32_e32 v180, 4, v0                              // 000000002418: 21680084
	v_lshlrev_b32_e32 v180, 4, v180                            // 00000000241C: 25696884
	v_and_b32_e32 v181, 15, v0                                 // 000000002420: 276A008F
	v_mul_i32_i24_e32 v181, 0x120, v181                        // 000000002424: 0D6B6AFF 00000120
	v_add3_u32 v209, v180, v181, s40                           // 00000000242C: D1FF00D1 00A36BB4
	buffer_load_dwordx4 v[4:7], v192, s[8:11], 0 offen         // 000000002434: E05C1000 800204C0
	buffer_load_dwordx4 v[8:11], v193, s[8:11], 0 offen        // 00000000243C: E05C1000 800208C1
	s_mov_b32 s14, 0x80000000                                  // 000000002444: BE8E00FF 80000000
	s_mov_b32 s15, 0x20000                                     // 00000000244C: BE8F00FF 00020000
	s_and_b32 s13, s13, 0xffff                                 // 000000002454: 860DFF0D 0000FFFF
	s_or_b32 s13, s13, 0                                       // 00000000245C: 870D800D
	s_mul_i32 s40, s47, s57                                    // 000000002460: 9228392F
	s_mul_i32 s41, s46, 0x100                                  // 000000002464: 9229FF2E 00000100
	s_add_u32 s41, s40, s41                                    // 00000000246C: 80292928
	s_add_u32 s84, s12, s41                                    // 000000002470: 8054290C
	s_addc_u32 s85, s13, 0                                     // 000000002474: 8255800D
	s_mov_b32 s18, 0x80000000                                  // 000000002478: BE9200FF 80000000
	s_mov_b32 s19, 0x20000                                     // 000000002480: BE9300FF 00020000
	s_and_b32 s17, s17, 0xffff                                 // 000000002488: 8611FF11 0000FFFF
	s_or_b32 s17, s17, 0                                       // 000000002490: 87118011
	s_add_u32 s86, s16, s41                                    // 000000002494: 80562910
	s_addc_u32 s87, s17, 0                                     // 000000002498: 82578011
	s_mov_b32 s30, 0x80000000                                  // 00000000249C: BE9E00FF 80000000
	s_mov_b32 s31, 0x20000                                     // 0000000024A4: BE9F00FF 00020000
	s_and_b32 s29, s29, 0xffff                                 // 0000000024AC: 861DFF1D 0000FFFF
	s_or_b32 s29, s29, 0                                       // 0000000024B4: 871D801D
	s_mul_i32 s40, s47, 0x1000                                 // 0000000024B8: 9228FF2F 00001000
	s_mul_i32 s41, s46, 64                                     // 0000000024C0: 9229C02E
	s_add_u32 s41, s40, s41                                    // 0000000024C4: 80292928
	s_add_u32 s88, s28, s41                                    // 0000000024C8: 8058291C
	s_addc_u32 s89, s29, 0                                     // 0000000024CC: 8259801D
	s_mov_b32 s34, 0x80000000                                  // 0000000024D0: BEA200FF 80000000
	s_mov_b32 s35, 0x20000                                     // 0000000024D8: BEA300FF 00020000
	s_and_b32 s33, s33, 0xffff                                 // 0000000024E0: 8621FF21 0000FFFF
	s_or_b32 s33, s33, 0                                       // 0000000024E8: 87218021
	s_add_u32 s90, s32, s41                                    // 0000000024EC: 805A2920
	s_addc_u32 s91, s33, 0                                     // 0000000024F0: 825B8021
	v_lshrrev_b32_e32 v180, 4, v0                              // 0000000024F4: 21680084
	v_and_b32_e32 v181, 15, v0                                 // 0000000024F8: 276A008F
	v_lshlrev_b32_e32 v182, 4, v181                            // 0000000024FC: 256D6A84
	v_mul_i32_i24_e32 v196, 0x4000, v180                       // 000000002500: 0D8968FF 00004000
	v_add_u32_e32 v196, v182, v196                             // 000000002508: 698989B6
	v_add_u32_e32 v197, 0x10000, v196                          // 00000000250C: 698B88FF 00010000
	v_mul_i32_i24_e32 v198, 0x800, v180                        // 000000002514: 0D8D68FF 00000800
	v_add_u32_e32 v198, v182, v198                             // 00000000251C: 698D8DB6
	v_add_u32_e32 v199, 0x2000, v198                           // 000000002520: 698F8CFF 00002000
	v_add_u32_e32 v200, 0x2000, v199                           // 000000002528: 69918EFF 00002000
	v_add_u32_e32 v201, 0x2000, v200                           // 000000002530: 699390FF 00002000
	v_lshlrev_b32_e32 v180, 2, v180                            // 000000002538: 25696882
	v_lshrrev_b32_e32 v181, 2, v181                            // 00000000253C: 216B6A82
	v_lshlrev_b32_e32 v181, 6, v181                            // 000000002540: 256B6A86
	v_and_b32_e32 v182, 3, v0                                  // 000000002544: 276C0083
	v_add3_u32 v180, v180, v181, v182                          // 000000002548: D1FF00B4 06DB6BB4
	v_lshlrev_b32_e32 v202, 2, v180                            // 000000002550: 25956882
	v_mov_b32_e32 v203, v202                                   // 000000002554: 7F9603CA
	s_waitcnt lgkmcnt(0)                                       // 000000002558: BF8CC07F
	s_mul_i32 s64, s61, s56                                    // 00000000255C: 9240383D
	s_mov_b32 s65, s64                                         // 000000002560: BEC10040
	s_mul_i32 s58, 0x1000, s53                                 // 000000002564: 923A35FF 00001000
	s_mul_i32 s66, s61, s58                                    // 00000000256C: 92423A3D
	s_add_u32 s12, s84, s64                                    // 000000002570: 800C4054
	s_addc_u32 s13, s85, 0                                     // 000000002574: 820D8055
	s_add_u32 s16, s86, s65                                    // 000000002578: 80104156
	s_addc_u32 s17, s87, 0                                     // 00000000257C: 82118057
	s_add_u32 s28, s88, s66                                    // 000000002580: 801C4258
	s_addc_u32 s29, s89, 0                                     // 000000002584: 821D8059
	s_add_u32 s32, s90, s66                                    // 000000002588: 8020425A
	s_addc_u32 s33, s91, 0                                     // 00000000258C: 8221805B
	s_add_u32 s64, s64, 0x1000                                 // 000000002590: 8040FF40 00001000
	s_add_u32 s65, s65, 0x8000                                 // 000000002598: 8041FF41 00008000
	s_add_u32 s66, s66, 0x400                                  // 0000000025A0: 8042FF42 00000400
	buffer_load_dwordx4 a[0:3], v196, s[12:15], 0 offen        // 0000000025A8: E05C1000 808300C4
	buffer_load_dwordx4 a[4:7], v197, s[12:15], 0 offen        // 0000000025B0: E05C1000 808304C5
	buffer_load_dwordx4 a[8:11], v196, s[12:15], 0 offen offset:1024// 0000000025B8: E05C1400 808308C4
	buffer_load_dwordx4 a[12:15], v197, s[12:15], 0 offen offset:1024// 0000000025C0: E05C1400 80830CC5
	buffer_load_dwordx4 a[16:19], v196, s[12:15], 0 offen offset:2048// 0000000025C8: E05C1800 808310C4
	buffer_load_dwordx4 a[20:23], v197, s[12:15], 0 offen offset:2048// 0000000025D0: E05C1800 808314C5
	buffer_load_dwordx4 a[24:27], v196, s[12:15], 0 offen offset:3072// 0000000025D8: E05C1C00 808318C4
	buffer_load_dwordx4 a[28:31], v197, s[12:15], 0 offen offset:3072// 0000000025E0: E05C1C00 80831CC5
	buffer_load_dword v128, v202, s[28:31], 0 offen            // 0000000025E8: E0501000 800780CA
	buffer_load_dword v130, v203, s[32:35], 0 offen            // 0000000025F0: E0501000 800882CB
	buffer_load_dwordx4 a[64:67], v198, s[16:19], 0 offen      // 0000000025F8: E05C1000 808440C6
	buffer_load_dwordx4 a[68:71], v199, s[16:19], 0 offen      // 000000002600: E05C1000 808444C7
	buffer_load_dwordx4 a[72:75], v200, s[16:19], 0 offen      // 000000002608: E05C1000 808448C8
	buffer_load_dwordx4 a[76:79], v201, s[16:19], 0 offen      // 000000002610: E05C1000 80844CC9
	buffer_load_dwordx4 a[80:83], v198, s[16:19], 0 offen offset:1024// 000000002618: E05C1400 808450C6
	buffer_load_dwordx4 a[84:87], v199, s[16:19], 0 offen offset:1024// 000000002620: E05C1400 808454C7
	buffer_load_dwordx4 a[88:91], v200, s[16:19], 0 offen offset:1024// 000000002628: E05C1400 808458C8
	buffer_load_dwordx4 a[92:95], v201, s[16:19], 0 offen offset:1024// 000000002630: E05C1400 80845CC9
	s_lshl_b32 s40, s46, 6                                     // 000000002638: 8E28862E
	v_add_u32_e32 v210, s40, v0                                // 00000000263C: 69A40028
	v_lshlrev_b32_e32 v210, 3, v210                            // 000000002640: 25A5A483
	v_and_b32_e32 v211, 15, v0                                 // 000000002644: 27A6008F
	v_lshlrev_b32_e32 v211, 3, v211                            // 000000002648: 25A7A683
	s_lshl_b32 s40, s46, 8                                     // 00000000264C: 8E28882E
	v_and_b32_e32 v181, 15, v0                                 // 000000002650: 276A008F
	v_lshlrev_b32_e32 v181, 4, v181                            // 000000002654: 256B6A84
	v_lshrrev_b32_e32 v182, 4, v0                              // 000000002658: 216C0084
	v_lshlrev_b32_e32 v182, 2, v182                            // 00000000265C: 256D6C82
	v_add3_u32 v212, v181, v182, s40                           // 000000002660: D1FF00D4 00A36DB5
	v_and_b32_e32 v180, 15, v0                                 // 000000002668: 2768008F
	v_lshlrev_b32_e32 v180, 4, v180                            // 00000000266C: 25696884
	v_lshrrev_b32_e32 v181, 4, v0                              // 000000002670: 216A0084
	v_lshlrev_b32_e32 v181, 8, v181                            // 000000002674: 256B6A88
	v_add_u32_e32 v213, v180, v181                             // 000000002678: 69AB6BB4
	s_lshl_b32 s40, s46, 4                                     // 00000000267C: 8E28842E
	v_lshrrev_b32_e32 v190, 4, v0                              // 000000002680: 217C0084
	v_lshlrev_b32_e32 v190, 2, v190                            // 000000002684: 257D7C82
	v_add_u32_e32 v190, s40, v190                              // 000000002688: 697D7C28
	s_sub_i32 s40, s59, 2                                      // 00000000268C: 81A8823B
	v_and_b32_e32 v180, 15, v0                                 // 000000002690: 2768008F
	v_add_u32_e32 v181, 16, v180                               // 000000002694: 696B6890
	v_mul_u32_u24_e32 v182, 13, v180                           // 000000002698: 116D688D
	v_lshrrev_b32_e32 v182, 7, v182                            // 00000000269C: 216D6C87
	v_mul_u32_u24_e32 v183, 10, v182                           // 0000000026A0: 116F6C8A
	v_sub_u32_e32 v183, v180, v183                             // 0000000026A4: 6B6F6FB4
	v_add_u32_e32 v188, s40, v182                              // 0000000026A8: 69796C28
	v_mul_u32_u24_e32 v182, 13, v181                           // 0000000026AC: 116D6A8D
	v_lshrrev_b32_e32 v182, 7, v182                            // 0000000026B0: 216D6C87
	v_mul_u32_u24_e32 v183, 10, v182                           // 0000000026B4: 116F6C8A
	v_sub_u32_e32 v183, v181, v183                             // 0000000026B8: 6B6F6FB5
	v_add_u32_e32 v189, s40, v182                              // 0000000026BC: 697B6C28
	s_waitcnt vmcnt(18)                                        // 0000000026C0: BF8C4F72
	v_lshlrev_b32_e32 v12, 16, v4                              // 0000000026C4: 24180890
	v_and_b32_e32 v13, 0xffff0000, v4                          // 0000000026C8: 261A08FF FFFF0000
	v_lshlrev_b32_e32 v14, 16, v5                              // 0000000026D0: 241C0A90
	v_and_b32_e32 v15, 0xffff0000, v5                          // 0000000026D4: 261E0AFF FFFF0000
	v_lshlrev_b32_e32 v16, 16, v6                              // 0000000026DC: 24200C90
	v_and_b32_e32 v17, 0xffff0000, v6                          // 0000000026E0: 26220CFF FFFF0000
	v_lshlrev_b32_e32 v18, 16, v7                              // 0000000026E8: 24240E90
	v_and_b32_e32 v19, 0xffff0000, v7                          // 0000000026EC: 26260EFF FFFF0000
	v_lshlrev_b32_e32 v20, 16, v8                              // 0000000026F4: 24281090
	v_and_b32_e32 v21, 0xffff0000, v8                          // 0000000026F8: 262A10FF FFFF0000
	v_lshlrev_b32_e32 v22, 16, v9                              // 000000002700: 242C1290
	v_and_b32_e32 v23, 0xffff0000, v9                          // 000000002704: 262E12FF FFFF0000
	v_lshlrev_b32_e32 v24, 16, v10                             // 00000000270C: 24301490
	v_and_b32_e32 v25, 0xffff0000, v10                         // 000000002710: 263214FF FFFF0000
	v_lshlrev_b32_e32 v26, 16, v11                             // 000000002718: 24341690
	v_and_b32_e32 v27, 0xffff0000, v11                         // 00000000271C: 263616FF FFFF0000
	v_mov_b32_e32 v146, 0x358637bd                             // 000000002724: 7F2402FF 358637BD
	v_max3_f32 v146, |v12|, |v13|, v146                        // 00000000272C: D1D30392 064A1B0C
	v_max3_f32 v146, |v14|, |v15|, v146                        // 000000002734: D1D30392 064A1F0E
	v_max3_f32 v146, |v16|, |v17|, v146                        // 00000000273C: D1D30392 064A2310
	v_max3_f32 v146, |v18|, |v19|, v146                        // 000000002744: D1D30392 064A2712
	v_mov_b32_e32 v147, 0x358637bd                             // 00000000274C: 7F2602FF 358637BD
	v_max3_f32 v147, |v20|, |v21|, v147                        // 000000002754: D1D30393 064E2B14
	v_max3_f32 v147, |v22|, |v23|, v147                        // 00000000275C: D1D30393 064E2F16
	v_max3_f32 v147, |v24|, |v25|, v147                        // 000000002764: D1D30393 064E3318
	v_max3_f32 v147, |v26|, |v27|, v147                        // 00000000276C: D1D30393 064E371A
	ds_write_b64 v204, v[146:147] offset:2304                  // 000000002774: D89A0900 000092CC
	s_waitcnt lgkmcnt(0)                                       // 00000000277C: BF8CC07F
	s_barrier                                                  // 000000002780: BF8A0000
	ds_read_b64 v[148:149], v205 offset:2304                   // 000000002784: D8EC0900 940000CD
	ds_read_b64 v[150:151], v205 offset:2448                   // 00000000278C: D8EC0990 960000CD
	ds_read_b64 v[152:153], v205 offset:2592                   // 000000002794: D8EC0A20 980000CD
	ds_read_b64 v[154:155], v205 offset:2736                   // 00000000279C: D8EC0AB0 9A0000CD
	ds_read_b64 v[156:157], v205 offset:2880                   // 0000000027A4: D8EC0B40 9C0000CD
	ds_read_b64 v[158:159], v205 offset:3024                   // 0000000027AC: D8EC0BD0 9E0000CD
	ds_read_b64 v[160:161], v205 offset:3168                   // 0000000027B4: D8EC0C60 A00000CD
	ds_read_b64 v[162:163], v205 offset:3312                   // 0000000027BC: D8EC0CF0 A20000CD
	ds_read_b64 v[164:165], v205 offset:3456                   // 0000000027C4: D8EC0D80 A40000CD
	ds_read_b64 v[166:167], v205 offset:3600                   // 0000000027CC: D8EC0E10 A60000CD
	ds_read_b64 v[168:169], v205 offset:3744                   // 0000000027D4: D8EC0EA0 A80000CD
	ds_read_b64 v[170:171], v205 offset:3888                   // 0000000027DC: D8EC0F30 AA0000CD
	ds_read_b64 v[172:173], v205 offset:4032                   // 0000000027E4: D8EC0FC0 AC0000CD
	ds_read_b64 v[174:175], v205 offset:4176                   // 0000000027EC: D8EC1050 AE0000CD
	ds_read_b64 v[176:177], v205 offset:4320                   // 0000000027F4: D8EC10E0 B00000CD
	ds_read_b64 v[178:179], v205 offset:4464                   // 0000000027FC: D8EC1170 B20000CD
	s_waitcnt lgkmcnt(0)                                       // 000000002804: BF8CC07F
	v_mov_b32_e32 v146, 0x358637bd                             // 000000002808: 7F2402FF 358637BD
	v_mov_b32_e32 v147, 0x358637bd                             // 000000002810: 7F2602FF 358637BD
	v_max3_f32 v146, v148, v150, v146                          // 000000002818: D1D30092 064B2D94
	v_max3_f32 v147, v149, v151, v147                          // 000000002820: D1D30093 064F2F95
	v_max3_f32 v146, v152, v154, v146                          // 000000002828: D1D30092 064B3598
	v_max3_f32 v147, v153, v155, v147                          // 000000002830: D1D30093 064F3799
	v_max3_f32 v146, v156, v158, v146                          // 000000002838: D1D30092 064B3D9C
	v_max3_f32 v147, v157, v159, v147                          // 000000002840: D1D30093 064F3F9D
	v_max3_f32 v146, v160, v162, v146                          // 000000002848: D1D30092 064B45A0
	v_max3_f32 v147, v161, v163, v147                          // 000000002850: D1D30093 064F47A1
	v_max3_f32 v146, v164, v166, v146                          // 000000002858: D1D30092 064B4DA4
	v_max3_f32 v147, v165, v167, v147                          // 000000002860: D1D30093 064F4FA5
	v_max3_f32 v146, v168, v170, v146                          // 000000002868: D1D30092 064B55A8
	v_max3_f32 v147, v169, v171, v147                          // 000000002870: D1D30093 064F57A9
	v_max3_f32 v146, v172, v174, v146                          // 000000002878: D1D30092 064B5DAC
	v_max3_f32 v147, v173, v175, v147                          // 000000002880: D1D30093 064F5FAD
	v_max3_f32 v146, v176, v178, v146                          // 000000002888: D1D30092 064B65B0
	v_max3_f32 v147, v177, v179, v147                          // 000000002890: D1D30093 064F67B1
	v_rcp_f32_e32 v146, v146                                   // 000000002898: 7F244592
	v_rcp_f32_e32 v147, v147                                   // 00000000289C: 7F264593
	v_mul_f32_e32 v146, 0x43700000, v146                       // 0000000028A0: 0B2524FF 43700000
	v_mul_f32_e32 v147, 0x43700000, v147                       // 0000000028A8: 0B2726FF 43700000
	s_lshl_b32 s40, s46, 2                                     // 0000000028B0: 8E28822E
	v_lshrrev_b32_e32 v182, 4, v0                              // 0000000028B4: 216C0084
	v_add_u32_e32 v182, s40, v182                              // 0000000028B8: 696D6C28
	v_lshlrev_b32_e32 v182, 2, v182                            // 0000000028BC: 256D6C82
	ds_bpermute_b32 v180, v182, v146                           // 0000000028C0: D87E0000 B40092B6
	ds_bpermute_b32 v181, v182, v147                           // 0000000028C8: D87E0000 B50093B6
	s_waitcnt lgkmcnt(0)                                       // 0000000028D0: BF8CC07F
	v_mul_f32_e32 v12, v12, v180                               // 0000000028D4: 0A19690C
	v_mul_f32_e32 v13, v13, v180                               // 0000000028D8: 0A1B690D
	v_mul_f32_e32 v14, v14, v180                               // 0000000028DC: 0A1D690E
	v_mul_f32_e32 v15, v15, v180                               // 0000000028E0: 0A1F690F
	v_mul_f32_e32 v16, v16, v180                               // 0000000028E4: 0A216910
	v_mul_f32_e32 v17, v17, v180                               // 0000000028E8: 0A236911
	v_mul_f32_e32 v18, v18, v180                               // 0000000028EC: 0A256912
	v_mul_f32_e32 v19, v19, v180                               // 0000000028F0: 0A276913
	v_mul_f32_e32 v20, v20, v181                               // 0000000028F4: 0A296B14
	v_mul_f32_e32 v21, v21, v181                               // 0000000028F8: 0A2B6B15
	v_mul_f32_e32 v22, v22, v181                               // 0000000028FC: 0A2D6B16
	v_mul_f32_e32 v23, v23, v181                               // 000000002900: 0A2F6B17
	v_mul_f32_e32 v24, v24, v181                               // 000000002904: 0A316B18
	v_mul_f32_e32 v25, v25, v181                               // 000000002908: 0A336B19
	v_mul_f32_e32 v26, v26, v181                               // 00000000290C: 0A356B1A
	v_mul_f32_e32 v27, v27, v181                               // 000000002910: 0A376B1B
	v_rcp_f32_e32 v124, v146                                   // 000000002914: 7EF84592
	v_rcp_f32_e32 v126, v147                                   // 000000002918: 7EFC4593
	v_mov_b32_e32 v125, v124                                   // 00000000291C: 7EFA037C
	v_mov_b32_e32 v127, v126                                   // 000000002920: 7EFE037E
	v_cvt_pk_fp8_f32 v12, v12, v13                             // 000000002924: D2A2000C 00021B0C
	v_cvt_pk_fp8_f32 v12, v14, v15 op_sel:[0,0,1]              // 00000000292C: D2A2400C 00021F0E
	v_cvt_pk_fp8_f32 v13, v16, v17                             // 000000002934: D2A2000D 00022310
	v_cvt_pk_fp8_f32 v13, v18, v19 op_sel:[0,0,1]              // 00000000293C: D2A2400D 00022712
	v_cvt_pk_fp8_f32 v14, v20, v21                             // 000000002944: D2A2000E 00022B14
	v_cvt_pk_fp8_f32 v14, v22, v23 op_sel:[0,0,1]              // 00000000294C: D2A2400E 00022F16
	v_cvt_pk_fp8_f32 v15, v24, v25                             // 000000002954: D2A2000F 00023318
	v_cvt_pk_fp8_f32 v15, v26, v27 op_sel:[0,0,1]              // 00000000295C: D2A2400F 0002371A
	ds_write_b64 v206, v[12:13] offset:4608                    // 000000002964: D89A1200 00000CCE
	ds_write_b64 v206, v[14:15] offset:6912                    // 00000000296C: D89A1B00 00000ECE
	s_waitcnt lgkmcnt(0)                                       // 000000002974: BF8CC07F
	s_barrier                                                  // 000000002978: BF8A0000
	ds_read_b128 v[12:15], v207 offset:4608                    // 00000000297C: D9FE1200 0C0000CF
	ds_read_b128 v[16:19], v207 offset:4672                    // 000000002984: D9FE1240 100000CF
	ds_read_b128 v[20:23], v207 offset:6912                    // 00000000298C: D9FE1B00 140000CF
	ds_read_b128 v[24:27], v207 offset:6976                    // 000000002994: D9FE1B40 180000CF
	v_mov_b32_e32 v108, 0                                      // 00000000299C: 7ED80280
	v_mov_b32_e32 v92, 0                                       // 0000000029A0: 7EB80280
	v_mov_b32_e32 v109, 0                                      // 0000000029A4: 7EDA0280
	v_mov_b32_e32 v93, 0                                       // 0000000029A8: 7EBA0280
	v_mov_b32_e32 v110, 0                                      // 0000000029AC: 7EDC0280
	v_mov_b32_e32 v94, 0                                       // 0000000029B0: 7EBC0280
	v_mov_b32_e32 v111, 0                                      // 0000000029B4: 7EDE0280
	v_mov_b32_e32 v95, 0                                       // 0000000029B8: 7EBE0280
	v_mov_b32_e32 v112, 0                                      // 0000000029BC: 7EE00280
	v_mov_b32_e32 v96, 0                                       // 0000000029C0: 7EC00280
	v_mov_b32_e32 v113, 0                                      // 0000000029C4: 7EE20280
	v_mov_b32_e32 v97, 0                                       // 0000000029C8: 7EC20280
	v_mov_b32_e32 v114, 0                                      // 0000000029CC: 7EE40280
	v_mov_b32_e32 v98, 0                                       // 0000000029D0: 7EC40280
	v_mov_b32_e32 v115, 0                                      // 0000000029D4: 7EE60280
	v_mov_b32_e32 v99, 0                                       // 0000000029D8: 7EC60280
	v_mov_b32_e32 v116, 0                                      // 0000000029DC: 7EE80280
	v_mov_b32_e32 v100, 0                                      // 0000000029E0: 7EC80280
	v_mov_b32_e32 v117, 0                                      // 0000000029E4: 7EEA0280
	v_mov_b32_e32 v101, 0                                      // 0000000029E8: 7ECA0280
	v_mov_b32_e32 v118, 0                                      // 0000000029EC: 7EEC0280
	v_mov_b32_e32 v102, 0                                      // 0000000029F0: 7ECC0280
	v_mov_b32_e32 v119, 0                                      // 0000000029F4: 7EEE0280
	v_mov_b32_e32 v103, 0                                      // 0000000029F8: 7ECE0280
	v_mov_b32_e32 v120, 0                                      // 0000000029FC: 7EF00280
	v_mov_b32_e32 v104, 0                                      // 000000002A00: 7ED00280
	v_mov_b32_e32 v121, 0                                      // 000000002A04: 7EF20280
	v_mov_b32_e32 v105, 0                                      // 000000002A08: 7ED20280
	v_mov_b32_e32 v122, 0                                      // 000000002A0C: 7EF40280
	v_mov_b32_e32 v106, 0                                      // 000000002A10: 7ED40280
	v_mov_b32_e32 v123, 0                                      // 000000002A14: 7EF60280
	v_mov_b32_e32 v107, 0                                      // 000000002A18: 7ED60280
	s_sub_i32 s40, s59, 2                                      // 000000002A1C: 81A8823B
	s_sub_i32 s60, s59, 0x100                                  // 000000002A20: 81BCFF3B 00000100
	s_and_b32 s50, s40, 0xffffff00                             // 000000002A28: 8632FF28 FFFFFF00
	s_mov_b32 s49, 0                                           // 000000002A30: BEB10080
	s_mov_b32 s62, 0                                           // 000000002A34: BEBE0080
	s_waitcnt lgkmcnt(0)                                       // 000000002A38: BF8CC07F
	s_cmp_lt_i32 s46, 2                                        // 000000002A3C: BF04822E
	s_cbranch_scc0 label_0F7E                                  // 000000002A40: BF840D2D

0000000000002a44 <label_0251>:
	s_cmp_lt_i32 s49, s50                                      // 000000002A44: BF043231
	s_cbranch_scc0 label_1CAB                                  // 000000002A48: BF841A58
	s_waitcnt vmcnt(10)                                        // 000000002A4C: BF8C0F7A
	v_mfma_f32_16x16x32_fp8_fp8 v[28:31], a[0:1], v[12:13], 0  // 000000002A50: D3F3001C 0A021900
	s_add_u32 s12, s84, s64                                    // 000000002A58: 800C4054
	s_addc_u32 s13, s85, 0                                     // 000000002A5C: 820D8055
	v_mfma_f32_16x16x32_fp8_fp8 v[28:31], a[2:3], v[14:15], v[28:31]// 000000002A60: D3F3001C 0C721D02
	s_add_u32 s16, s86, s65                                    // 000000002A68: 80104156
	s_addc_u32 s17, s87, 0                                     // 000000002A6C: 82118057
	v_mfma_f32_16x16x32_fp8_fp8 v[28:31], a[4:5], v[16:17], v[28:31]// 000000002A70: D3F3001C 0C722104
	buffer_load_dwordx4 a[32:35], v196, s[12:15], 0 offen      // 000000002A78: E05C1000 808320C4
	v_mfma_f32_16x16x32_fp8_fp8 v[28:31], a[6:7], v[18:19], v[28:31]// 000000002A80: D3F3001C 0C722506
	s_add_u32 s28, s88, s66                                    // 000000002A88: 801C4258
	s_addc_u32 s29, s89, 0                                     // 000000002A8C: 821D8059
	v_mfma_f32_16x16x32_fp8_fp8 v[32:35], a[8:9], v[12:13], 0  // 000000002A90: D3F30020 0A021908
	s_add_u32 s32, s90, s66                                    // 000000002A98: 8020425A
	s_addc_u32 s33, s91, 0                                     // 000000002A9C: 8221805B
	v_mfma_f32_16x16x32_fp8_fp8 v[32:35], a[10:11], v[14:15], v[32:35]// 000000002AA0: D3F30020 0C821D0A
	s_add_u32 s64, s64, 0x1000                                 // 000000002AA8: 8040FF40 00001000
	s_add_u32 s65, s65, 0x8000                                 // 000000002AB0: 8041FF41 00008000
	v_mfma_f32_16x16x32_fp8_fp8 v[32:35], a[12:13], v[16:17], v[32:35]// 000000002AB8: D3F30020 0C82210C
	buffer_load_dwordx4 a[36:39], v197, s[12:15], 0 offen      // 000000002AC0: E05C1000 808324C5
	v_mfma_f32_16x16x32_fp8_fp8 v[32:35], a[14:15], v[18:19], v[32:35]// 000000002AC8: D3F30020 0C82250E
	s_add_u32 s66, s66, 0x400                                  // 000000002AD0: 8042FF42 00000400
	v_mfma_f32_16x16x32_fp8_fp8 v[36:39], a[16:17], v[12:13], 0// 000000002AD8: D3F30024 0A021910
	v_mfma_f32_16x16x32_fp8_fp8 v[36:39], a[18:19], v[14:15], v[36:39]// 000000002AE0: D3F30024 0C921D12
	v_mfma_f32_16x16x32_fp8_fp8 v[36:39], a[20:21], v[16:17], v[36:39]// 000000002AE8: D3F30024 0C922114
	buffer_load_dwordx4 a[40:43], v196, s[12:15], 0 offen offset:1024// 000000002AF0: E05C1400 808328C4
	v_mfma_f32_16x16x32_fp8_fp8 v[36:39], a[22:23], v[18:19], v[36:39]// 000000002AF8: D3F30024 0C922516
	v_mfma_f32_16x16x32_fp8_fp8 v[40:43], a[24:25], v[12:13], 0// 000000002B00: D3F30028 0A021918
	v_mfma_f32_16x16x32_fp8_fp8 v[40:43], a[26:27], v[14:15], v[40:43]// 000000002B08: D3F30028 0CA21D1A
	v_mfma_f32_16x16x32_fp8_fp8 v[40:43], a[28:29], v[16:17], v[40:43]// 000000002B10: D3F30028 0CA2211C
	buffer_load_dwordx4 a[44:47], v197, s[12:15], 0 offen offset:1024// 000000002B18: E05C1400 80832CC5
	v_mfma_f32_16x16x32_fp8_fp8 v[40:43], a[30:31], v[18:19], v[40:43]// 000000002B20: D3F30028 0CA2251E
	v_mfma_f32_16x16x32_fp8_fp8 v[44:47], a[0:1], v[20:21], 0  // 000000002B28: D3F3002C 0A022900
	v_mfma_f32_16x16x32_fp8_fp8 v[44:47], a[2:3], v[22:23], v[44:47]// 000000002B30: D3F3002C 0CB22D02
	v_mfma_f32_16x16x32_fp8_fp8 v[44:47], a[4:5], v[24:25], v[44:47]// 000000002B38: D3F3002C 0CB23104
	buffer_load_dwordx4 a[48:51], v196, s[12:15], 0 offen offset:2048// 000000002B40: E05C1800 808330C4
	v_mfma_f32_16x16x32_fp8_fp8 v[44:47], a[6:7], v[26:27], v[44:47]// 000000002B48: D3F3002C 0CB23506
	v_mfma_f32_16x16x32_fp8_fp8 v[48:51], a[8:9], v[20:21], 0  // 000000002B50: D3F30030 0A022908
	v_mfma_f32_16x16x32_fp8_fp8 v[48:51], a[10:11], v[22:23], v[48:51]// 000000002B58: D3F30030 0CC22D0A
	v_mfma_f32_16x16x32_fp8_fp8 v[48:51], a[12:13], v[24:25], v[48:51]// 000000002B60: D3F30030 0CC2310C
	buffer_load_dwordx4 a[52:55], v197, s[12:15], 0 offen offset:2048// 000000002B68: E05C1800 808334C5
	v_mfma_f32_16x16x32_fp8_fp8 v[48:51], a[14:15], v[26:27], v[48:51]// 000000002B70: D3F30030 0CC2350E
	v_mfma_f32_16x16x32_fp8_fp8 v[52:55], a[16:17], v[20:21], 0// 000000002B78: D3F30034 0A022910
	v_mfma_f32_16x16x32_fp8_fp8 v[52:55], a[18:19], v[22:23], v[52:55]// 000000002B80: D3F30034 0CD22D12
	v_mfma_f32_16x16x32_fp8_fp8 v[52:55], a[20:21], v[24:25], v[52:55]// 000000002B88: D3F30034 0CD23114
	buffer_load_dwordx4 a[56:59], v196, s[12:15], 0 offen offset:3072// 000000002B90: E05C1C00 808338C4
	v_mfma_f32_16x16x32_fp8_fp8 v[52:55], a[22:23], v[26:27], v[52:55]// 000000002B98: D3F30034 0CD23516
	v_mfma_f32_16x16x32_fp8_fp8 v[56:59], a[24:25], v[20:21], 0// 000000002BA0: D3F30038 0A022918
	v_mfma_f32_16x16x32_fp8_fp8 v[56:59], a[26:27], v[22:23], v[56:59]// 000000002BA8: D3F30038 0CE22D1A
	v_mfma_f32_16x16x32_fp8_fp8 v[56:59], a[28:29], v[24:25], v[56:59]// 000000002BB0: D3F30038 0CE2311C
	buffer_load_dwordx4 a[60:63], v197, s[12:15], 0 offen offset:3072// 000000002BB8: E05C1C00 80833CC5
	v_mfma_f32_16x16x32_fp8_fp8 v[56:59], a[30:31], v[26:27], v[56:59]// 000000002BC0: D3F30038 0CE2351E
	s_waitcnt vmcnt(16)                                        // 000000002BC8: BF8C4F70
	v_pk_mul_f32 v[28:29], v[124:125], v[28:29]                // 000000002BCC: D3B1401C 1802397C
	v_pk_mul_f32 v[30:31], v[124:125], v[30:31]                // 000000002BD4: D3B1401E 18023D7C
	v_mul_f32_dpp v28, v128, v28 row_newbcast:0 row_mask:0xf bank_mask:0xf// 000000002BDC: 0A3838FA FF015080
	v_mul_f32_dpp v29, v128, v29 row_newbcast:1 row_mask:0xf bank_mask:0xf// 000000002BE4: 0A3A3AFA FF015180
	v_mul_f32_dpp v30, v128, v30 row_newbcast:2 row_mask:0xf bank_mask:0xf// 000000002BEC: 0A3C3CFA FF015280
	v_mul_f32_dpp v31, v128, v31 row_newbcast:3 row_mask:0xf bank_mask:0xf// 000000002BF4: 0A3E3EFA FF015380
	v_pk_mul_f32 v[32:33], v[124:125], v[32:33]                // 000000002BFC: D3B14020 1802417C
	v_pk_mul_f32 v[34:35], v[124:125], v[34:35]                // 000000002C04: D3B14022 1802457C
	v_mul_f32_dpp v32, v128, v32 row_newbcast:4 row_mask:0xf bank_mask:0xf// 000000002C0C: 0A4040FA FF015480
	v_mul_f32_dpp v33, v128, v33 row_newbcast:5 row_mask:0xf bank_mask:0xf// 000000002C14: 0A4242FA FF015580
	v_mul_f32_dpp v34, v128, v34 row_newbcast:6 row_mask:0xf bank_mask:0xf// 000000002C1C: 0A4444FA FF015680
	v_mul_f32_dpp v35, v128, v35 row_newbcast:7 row_mask:0xf bank_mask:0xf// 000000002C24: 0A4646FA FF015780
	v_pk_mul_f32 v[36:37], v[124:125], v[36:37]                // 000000002C2C: D3B14024 1802497C
	v_pk_mul_f32 v[38:39], v[124:125], v[38:39]                // 000000002C34: D3B14026 18024D7C
	v_mul_f32_dpp v36, v128, v36 row_newbcast:8 row_mask:0xf bank_mask:0xf// 000000002C3C: 0A4848FA FF015880
	v_mul_f32_dpp v37, v128, v37 row_newbcast:9 row_mask:0xf bank_mask:0xf// 000000002C44: 0A4A4AFA FF015980
	v_mul_f32_dpp v38, v128, v38 row_newbcast:10 row_mask:0xf bank_mask:0xf// 000000002C4C: 0A4C4CFA FF015A80
	v_mul_f32_dpp v39, v128, v39 row_newbcast:11 row_mask:0xf bank_mask:0xf// 000000002C54: 0A4E4EFA FF015B80
	v_pk_mul_f32 v[40:41], v[124:125], v[40:41]                // 000000002C5C: D3B14028 1802517C
	v_pk_mul_f32 v[42:43], v[124:125], v[42:43]                // 000000002C64: D3B1402A 1802557C
	v_mul_f32_dpp v40, v128, v40 row_newbcast:12 row_mask:0xf bank_mask:0xf// 000000002C6C: 0A5050FA FF015C80
	v_mul_f32_dpp v41, v128, v41 row_newbcast:13 row_mask:0xf bank_mask:0xf// 000000002C74: 0A5252FA FF015D80
	v_mul_f32_dpp v42, v128, v42 row_newbcast:14 row_mask:0xf bank_mask:0xf// 000000002C7C: 0A5454FA FF015E80
	v_mul_f32_dpp v43, v128, v43 row_newbcast:15 row_mask:0xf bank_mask:0xf// 000000002C84: 0A5656FA FF015F80
	v_pk_mul_f32 v[44:45], v[126:127], v[44:45]                // 000000002C8C: D3B1402C 1802597E
	v_pk_mul_f32 v[46:47], v[126:127], v[46:47]                // 000000002C94: D3B1402E 18025D7E
	v_mul_f32_dpp v44, v128, v44 row_newbcast:0 row_mask:0xf bank_mask:0xf// 000000002C9C: 0A5858FA FF015080
	v_mul_f32_dpp v45, v128, v45 row_newbcast:1 row_mask:0xf bank_mask:0xf// 000000002CA4: 0A5A5AFA FF015180
	v_mul_f32_dpp v46, v128, v46 row_newbcast:2 row_mask:0xf bank_mask:0xf// 000000002CAC: 0A5C5CFA FF015280
	v_mul_f32_dpp v47, v128, v47 row_newbcast:3 row_mask:0xf bank_mask:0xf// 000000002CB4: 0A5E5EFA FF015380
	v_pk_mul_f32 v[48:49], v[126:127], v[48:49]                // 000000002CBC: D3B14030 1802617E
	v_pk_mul_f32 v[50:51], v[126:127], v[50:51]                // 000000002CC4: D3B14032 1802657E
	v_mul_f32_dpp v48, v128, v48 row_newbcast:4 row_mask:0xf bank_mask:0xf// 000000002CCC: 0A6060FA FF015480
	v_mul_f32_dpp v49, v128, v49 row_newbcast:5 row_mask:0xf bank_mask:0xf// 000000002CD4: 0A6262FA FF015580
	v_mul_f32_dpp v50, v128, v50 row_newbcast:6 row_mask:0xf bank_mask:0xf// 000000002CDC: 0A6464FA FF015680
	v_mul_f32_dpp v51, v128, v51 row_newbcast:7 row_mask:0xf bank_mask:0xf// 000000002CE4: 0A6666FA FF015780
	v_pk_mul_f32 v[52:53], v[126:127], v[52:53]                // 000000002CEC: D3B14034 1802697E
	v_pk_mul_f32 v[54:55], v[126:127], v[54:55]                // 000000002CF4: D3B14036 18026D7E
	v_mul_f32_dpp v52, v128, v52 row_newbcast:8 row_mask:0xf bank_mask:0xf// 000000002CFC: 0A6868FA FF015880
	v_mul_f32_dpp v53, v128, v53 row_newbcast:9 row_mask:0xf bank_mask:0xf// 000000002D04: 0A6A6AFA FF015980
	v_mul_f32_dpp v54, v128, v54 row_newbcast:10 row_mask:0xf bank_mask:0xf// 000000002D0C: 0A6C6CFA FF015A80
	v_mul_f32_dpp v55, v128, v55 row_newbcast:11 row_mask:0xf bank_mask:0xf// 000000002D14: 0A6E6EFA FF015B80
	v_pk_mul_f32 v[56:57], v[126:127], v[56:57]                // 000000002D1C: D3B14038 1802717E
	v_pk_mul_f32 v[58:59], v[126:127], v[58:59]                // 000000002D24: D3B1403A 1802757E
	v_mul_f32_dpp v56, v128, v56 row_newbcast:12 row_mask:0xf bank_mask:0xf// 000000002D2C: 0A7070FA FF015C80
	v_mul_f32_dpp v57, v128, v57 row_newbcast:13 row_mask:0xf bank_mask:0xf// 000000002D34: 0A7272FA FF015D80
	v_mul_f32_dpp v58, v128, v58 row_newbcast:14 row_mask:0xf bank_mask:0xf// 000000002D3C: 0A7474FA FF015E80
	v_mul_f32_dpp v59, v128, v59 row_newbcast:15 row_mask:0xf bank_mask:0xf// 000000002D44: 0A7676FA FF015F80
	v_mov_b32_e32 v146, v28                                    // 000000002D4C: 7F24031C
	v_max3_f32 v146, v28, v29, v146                            // 000000002D50: D1D30092 064A3B1C
	v_max3_f32 v146, v30, v31, v146                            // 000000002D58: D1D30092 064A3F1E
	v_max3_f32 v146, v32, v33, v146                            // 000000002D60: D1D30092 064A4320
	v_max3_f32 v146, v34, v35, v146                            // 000000002D68: D1D30092 064A4722
	v_max3_f32 v146, v36, v37, v146                            // 000000002D70: D1D30092 064A4B24
	v_max3_f32 v146, v38, v39, v146                            // 000000002D78: D1D30092 064A4F26
	v_max3_f32 v146, v40, v41, v146                            // 000000002D80: D1D30092 064A5328
	v_max3_f32 v146, v42, v43, v146                            // 000000002D88: D1D30092 064A572A
	v_mov_b32_e32 v147, v44                                    // 000000002D90: 7F26032C
	v_max3_f32 v147, v44, v45, v147                            // 000000002D94: D1D30093 064E5B2C
	v_max3_f32 v147, v46, v47, v147                            // 000000002D9C: D1D30093 064E5F2E
	v_max3_f32 v147, v48, v49, v147                            // 000000002DA4: D1D30093 064E6330
	v_max3_f32 v147, v50, v51, v147                            // 000000002DAC: D1D30093 064E6732
	v_max3_f32 v147, v52, v53, v147                            // 000000002DB4: D1D30093 064E6B34
	v_max3_f32 v147, v54, v55, v147                            // 000000002DBC: D1D30093 064E6F36
	v_max3_f32 v147, v56, v57, v147                            // 000000002DC4: D1D30093 064E7338
	v_max3_f32 v147, v58, v59, v147                            // 000000002DCC: D1D30093 064E773A
	ds_write_b64 v210, v[146:147]                              // 000000002DD4: D89A0000 000092D2
	v_pk_mul_f32 v[108:109], v[140:141], v[108:109]            // 000000002DDC: D3B1406C 1802D98C
	v_pk_mul_f32 v[110:111], v[140:141], v[110:111]            // 000000002DE4: D3B1406E 1802DD8C
	v_pk_mul_f32 v[112:113], v[140:141], v[112:113]            // 000000002DEC: D3B14070 1802E18C
	v_pk_mul_f32 v[114:115], v[140:141], v[114:115]            // 000000002DF4: D3B14072 1802E58C
	v_pk_mul_f32 v[116:117], v[142:143], v[116:117]            // 000000002DFC: D3B14074 1802E98E
	v_pk_mul_f32 v[118:119], v[142:143], v[118:119]            // 000000002E04: D3B14076 1802ED8E
	v_pk_mul_f32 v[120:121], v[142:143], v[120:121]            // 000000002E0C: D3B14078 1802F18E
	v_pk_mul_f32 v[122:123], v[142:143], v[122:123]            // 000000002E14: D3B1407A 1802F58E
	s_waitcnt lgkmcnt(0)                                       // 000000002E1C: BF8CC07F
	s_barrier                                                  // 000000002E20: BF8A0000
	ds_read_b64 v[148:149], v211                               // 000000002E24: D8EC0000 940000D3
	ds_read_b64 v[150:151], v211 offset:128                    // 000000002E2C: D8EC0080 960000D3
	ds_read_b64 v[152:153], v211 offset:256                    // 000000002E34: D8EC0100 980000D3
	ds_read_b64 v[154:155], v211 offset:384                    // 000000002E3C: D8EC0180 9A0000D3
	ds_read_b64 v[156:157], v211 offset:512                    // 000000002E44: D8EC0200 9C0000D3
	ds_read_b64 v[158:159], v211 offset:640                    // 000000002E4C: D8EC0280 9E0000D3
	ds_read_b64 v[160:161], v211 offset:768                    // 000000002E54: D8EC0300 A00000D3
	ds_read_b64 v[162:163], v211 offset:896                    // 000000002E5C: D8EC0380 A20000D3
	ds_read_b64 v[164:165], v211 offset:1024                   // 000000002E64: D8EC0400 A40000D3
	ds_read_b64 v[166:167], v211 offset:1152                   // 000000002E6C: D8EC0480 A60000D3
	ds_read_b64 v[168:169], v211 offset:1280                   // 000000002E74: D8EC0500 A80000D3
	ds_read_b64 v[170:171], v211 offset:1408                   // 000000002E7C: D8EC0580 AA0000D3
	ds_read_b64 v[172:173], v211 offset:1536                   // 000000002E84: D8EC0600 AC0000D3
	ds_read_b64 v[174:175], v211 offset:1664                   // 000000002E8C: D8EC0680 AE0000D3
	ds_read_b64 v[176:177], v211 offset:1792                   // 000000002E94: D8EC0700 B00000D3
	ds_read_b64 v[178:179], v211 offset:1920                   // 000000002E9C: D8EC0780 B20000D3
	v_pk_mul_f32 v[92:93], v[132:133], v[92:93]                // 000000002EA4: D3B1405C 1802B984
	v_pk_mul_f32 v[94:95], v[132:133], v[94:95]                // 000000002EAC: D3B1405E 1802BD84
	v_pk_mul_f32 v[96:97], v[132:133], v[96:97]                // 000000002EB4: D3B14060 1802C184
	v_pk_mul_f32 v[98:99], v[132:133], v[98:99]                // 000000002EBC: D3B14062 1802C584
	v_pk_mul_f32 v[100:101], v[134:135], v[100:101]            // 000000002EC4: D3B14064 1802C986
	v_pk_mul_f32 v[102:103], v[134:135], v[102:103]            // 000000002ECC: D3B14066 1802CD86
	v_pk_mul_f32 v[104:105], v[134:135], v[104:105]            // 000000002ED4: D3B14068 1802D186
	v_pk_mul_f32 v[106:107], v[134:135], v[106:107]            // 000000002EDC: D3B1406A 1802D586
	s_waitcnt lgkmcnt(0)                                       // 000000002EE4: BF8CC07F
	v_max3_f32 v146, v148, v150, v146                          // 000000002EE8: D1D30092 064B2D94
	v_max3_f32 v147, v149, v151, v147                          // 000000002EF0: D1D30093 064F2F95
	v_max3_f32 v146, v152, v154, v146                          // 000000002EF8: D1D30092 064B3598
	v_max3_f32 v147, v153, v155, v147                          // 000000002F00: D1D30093 064F3799
	v_max3_f32 v146, v156, v158, v146                          // 000000002F08: D1D30092 064B3D9C
	v_max3_f32 v147, v157, v159, v147                          // 000000002F10: D1D30093 064F3F9D
	v_max3_f32 v146, v160, v162, v146                          // 000000002F18: D1D30092 064B45A0
	v_max3_f32 v147, v161, v163, v147                          // 000000002F20: D1D30093 064F47A1
	v_max3_f32 v146, v164, v166, v146                          // 000000002F28: D1D30092 064B4DA4
	v_max3_f32 v147, v165, v167, v147                          // 000000002F30: D1D30093 064F4FA5
	v_max3_f32 v146, v168, v170, v146                          // 000000002F38: D1D30092 064B55A8
	v_max3_f32 v147, v169, v171, v147                          // 000000002F40: D1D30093 064F57A9
	v_max3_f32 v146, v172, v174, v146                          // 000000002F48: D1D30092 064B5DAC
	v_max3_f32 v147, v173, v175, v147                          // 000000002F50: D1D30093 064F5FAD
	v_max3_f32 v146, v176, v178, v146                          // 000000002F58: D1D30092 064B65B0
	v_max3_f32 v147, v177, v179, v147                          // 000000002F60: D1D30093 064F67B1
	v_max_f32_e32 v138, v146, v136                             // 000000002F68: 17151192
	v_mul_f32_e64 v180, -s51, v138                             // 000000002F6C: D10500B4 20031433
	v_mov_b32_e32 v181, v180                                   // 000000002F74: 7F6A03B4
	v_pk_fma_f32 v[28:29], v[28:29], s[68:69], v[180:181]      // 000000002F78: D3B0401C 1ED0891C
	v_pk_fma_f32 v[30:31], v[30:31], s[68:69], v[180:181]      // 000000002F80: D3B0401E 1ED0891E
	v_exp_f32_e32 v28, v28                                     // 000000002F88: 7E38411C
	v_exp_f32_e32 v29, v29                                     // 000000002F8C: 7E3A411D
	v_exp_f32_e32 v30, v30                                     // 000000002F90: 7E3C411E
	v_exp_f32_e32 v31, v31                                     // 000000002F94: 7E3E411F
	v_pk_fma_f32 v[32:33], v[32:33], s[68:69], v[180:181]      // 000000002F98: D3B04020 1ED08920
	v_pk_fma_f32 v[34:35], v[34:35], s[68:69], v[180:181]      // 000000002FA0: D3B04022 1ED08922
	v_exp_f32_e32 v32, v32                                     // 000000002FA8: 7E404120
	v_exp_f32_e32 v33, v33                                     // 000000002FAC: 7E424121
	v_exp_f32_e32 v34, v34                                     // 000000002FB0: 7E444122
	v_exp_f32_e32 v35, v35                                     // 000000002FB4: 7E464123
	v_pk_fma_f32 v[36:37], v[36:37], s[68:69], v[180:181]      // 000000002FB8: D3B04024 1ED08924
	v_pk_fma_f32 v[38:39], v[38:39], s[68:69], v[180:181]      // 000000002FC0: D3B04026 1ED08926
	v_exp_f32_e32 v36, v36                                     // 000000002FC8: 7E484124
	v_exp_f32_e32 v37, v37                                     // 000000002FCC: 7E4A4125
	v_exp_f32_e32 v38, v38                                     // 000000002FD0: 7E4C4126
	v_exp_f32_e32 v39, v39                                     // 000000002FD4: 7E4E4127
	v_pk_fma_f32 v[40:41], v[40:41], s[68:69], v[180:181]      // 000000002FD8: D3B04028 1ED08928
	v_pk_fma_f32 v[42:43], v[42:43], s[68:69], v[180:181]      // 000000002FE0: D3B0402A 1ED0892A
	v_exp_f32_e32 v40, v40                                     // 000000002FE8: 7E504128
	v_exp_f32_e32 v41, v41                                     // 000000002FEC: 7E524129
	v_exp_f32_e32 v42, v42                                     // 000000002FF0: 7E54412A
	v_exp_f32_e32 v43, v43                                     // 000000002FF4: 7E56412B
	v_max_f32_e32 v139, v147, v137                             // 000000002FF8: 17171393
	v_mul_f32_e64 v180, -s51, v139                             // 000000002FFC: D10500B4 20031633
	v_mov_b32_e32 v181, v180                                   // 000000003004: 7F6A03B4
	v_pk_fma_f32 v[44:45], v[44:45], s[68:69], v[180:181]      // 000000003008: D3B0402C 1ED0892C
	v_pk_fma_f32 v[46:47], v[46:47], s[68:69], v[180:181]      // 000000003010: D3B0402E 1ED0892E
	v_exp_f32_e32 v44, v44                                     // 000000003018: 7E58412C
	v_exp_f32_e32 v45, v45                                     // 00000000301C: 7E5A412D
	v_exp_f32_e32 v46, v46                                     // 000000003020: 7E5C412E
	v_exp_f32_e32 v47, v47                                     // 000000003024: 7E5E412F
	v_pk_fma_f32 v[48:49], v[48:49], s[68:69], v[180:181]      // 000000003028: D3B04030 1ED08930
	v_pk_fma_f32 v[50:51], v[50:51], s[68:69], v[180:181]      // 000000003030: D3B04032 1ED08932
	v_exp_f32_e32 v48, v48                                     // 000000003038: 7E604130
	v_exp_f32_e32 v49, v49                                     // 00000000303C: 7E624131
	v_exp_f32_e32 v50, v50                                     // 000000003040: 7E644132
	v_exp_f32_e32 v51, v51                                     // 000000003044: 7E664133
	v_pk_fma_f32 v[52:53], v[52:53], s[68:69], v[180:181]      // 000000003048: D3B04034 1ED08934
	v_pk_fma_f32 v[54:55], v[54:55], s[68:69], v[180:181]      // 000000003050: D3B04036 1ED08936
	v_exp_f32_e32 v52, v52                                     // 000000003058: 7E684134
	v_exp_f32_e32 v53, v53                                     // 00000000305C: 7E6A4135
	v_exp_f32_e32 v54, v54                                     // 000000003060: 7E6C4136
	v_exp_f32_e32 v55, v55                                     // 000000003064: 7E6E4137
	v_pk_fma_f32 v[56:57], v[56:57], s[68:69], v[180:181]      // 000000003068: D3B04038 1ED08938
	v_pk_fma_f32 v[58:59], v[58:59], s[68:69], v[180:181]      // 000000003070: D3B0403A 1ED0893A
	v_exp_f32_e32 v56, v56                                     // 000000003078: 7E704138
	v_exp_f32_e32 v57, v57                                     // 00000000307C: 7E724139
	v_exp_f32_e32 v58, v58                                     // 000000003080: 7E74413A
	v_exp_f32_e32 v59, v59                                     // 000000003084: 7E76413B
	v_mul_f32_dpp v60, v130, v28 row_newbcast:0 row_mask:0xf bank_mask:0xf// 000000003088: 0A7838FA FF015082
	v_mul_f32_dpp v61, v130, v29 row_newbcast:1 row_mask:0xf bank_mask:0xf// 000000003090: 0A7A3AFA FF015182
	v_mul_f32_dpp v62, v130, v30 row_newbcast:2 row_mask:0xf bank_mask:0xf// 000000003098: 0A7C3CFA FF015282
	v_mul_f32_dpp v63, v130, v31 row_newbcast:3 row_mask:0xf bank_mask:0xf// 0000000030A0: 0A7E3EFA FF015382
	v_mul_f32_dpp v64, v130, v32 row_newbcast:4 row_mask:0xf bank_mask:0xf// 0000000030A8: 0A8040FA FF015482
	v_mul_f32_dpp v65, v130, v33 row_newbcast:5 row_mask:0xf bank_mask:0xf// 0000000030B0: 0A8242FA FF015582
	v_mul_f32_dpp v66, v130, v34 row_newbcast:6 row_mask:0xf bank_mask:0xf// 0000000030B8: 0A8444FA FF015682
	v_mul_f32_dpp v67, v130, v35 row_newbcast:7 row_mask:0xf bank_mask:0xf// 0000000030C0: 0A8646FA FF015782
	v_mul_f32_dpp v68, v130, v36 row_newbcast:8 row_mask:0xf bank_mask:0xf// 0000000030C8: 0A8848FA FF015882
	v_mul_f32_dpp v69, v130, v37 row_newbcast:9 row_mask:0xf bank_mask:0xf// 0000000030D0: 0A8A4AFA FF015982
	v_mul_f32_dpp v70, v130, v38 row_newbcast:10 row_mask:0xf bank_mask:0xf// 0000000030D8: 0A8C4CFA FF015A82
	v_mul_f32_dpp v71, v130, v39 row_newbcast:11 row_mask:0xf bank_mask:0xf// 0000000030E0: 0A8E4EFA FF015B82
	v_mul_f32_dpp v72, v130, v40 row_newbcast:12 row_mask:0xf bank_mask:0xf// 0000000030E8: 0A9050FA FF015C82
	v_mul_f32_dpp v73, v130, v41 row_newbcast:13 row_mask:0xf bank_mask:0xf// 0000000030F0: 0A9252FA FF015D82
	v_mul_f32_dpp v74, v130, v42 row_newbcast:14 row_mask:0xf bank_mask:0xf// 0000000030F8: 0A9454FA FF015E82
	v_mul_f32_dpp v75, v130, v43 row_newbcast:15 row_mask:0xf bank_mask:0xf// 000000003100: 0A9656FA FF015F82
	v_mul_f32_dpp v76, v130, v44 row_newbcast:0 row_mask:0xf bank_mask:0xf// 000000003108: 0A9858FA FF015082
	v_mul_f32_dpp v77, v130, v45 row_newbcast:1 row_mask:0xf bank_mask:0xf// 000000003110: 0A9A5AFA FF015182
	v_mul_f32_dpp v78, v130, v46 row_newbcast:2 row_mask:0xf bank_mask:0xf// 000000003118: 0A9C5CFA FF015282
	v_mul_f32_dpp v79, v130, v47 row_newbcast:3 row_mask:0xf bank_mask:0xf// 000000003120: 0A9E5EFA FF015382
	v_mul_f32_dpp v80, v130, v48 row_newbcast:4 row_mask:0xf bank_mask:0xf// 000000003128: 0AA060FA FF015482
	v_mul_f32_dpp v81, v130, v49 row_newbcast:5 row_mask:0xf bank_mask:0xf// 000000003130: 0AA262FA FF015582
	v_mul_f32_dpp v82, v130, v50 row_newbcast:6 row_mask:0xf bank_mask:0xf// 000000003138: 0AA464FA FF015682
	v_mul_f32_dpp v83, v130, v51 row_newbcast:7 row_mask:0xf bank_mask:0xf// 000000003140: 0AA666FA FF015782
	v_mul_f32_dpp v84, v130, v52 row_newbcast:8 row_mask:0xf bank_mask:0xf// 000000003148: 0AA868FA FF015882
	v_mul_f32_dpp v85, v130, v53 row_newbcast:9 row_mask:0xf bank_mask:0xf// 000000003150: 0AAA6AFA FF015982
	v_mul_f32_dpp v86, v130, v54 row_newbcast:10 row_mask:0xf bank_mask:0xf// 000000003158: 0AAC6CFA FF015A82
	v_mul_f32_dpp v87, v130, v55 row_newbcast:11 row_mask:0xf bank_mask:0xf// 000000003160: 0AAE6EFA FF015B82
	v_mul_f32_dpp v88, v130, v56 row_newbcast:12 row_mask:0xf bank_mask:0xf// 000000003168: 0AB070FA FF015C82
	v_mul_f32_dpp v89, v130, v57 row_newbcast:13 row_mask:0xf bank_mask:0xf// 000000003170: 0AB272FA FF015D82
	v_mul_f32_dpp v90, v130, v58 row_newbcast:14 row_mask:0xf bank_mask:0xf// 000000003178: 0AB474FA FF015E82
	v_mul_f32_dpp v91, v130, v59 row_newbcast:15 row_mask:0xf bank_mask:0xf// 000000003180: 0AB676FA FF015F82
	v_mov_b32_e32 v146, 0x358637bd                             // 000000003188: 7F2402FF 358637BD
	v_max3_f32 v146, |v60|, |v61|, v146                        // 000000003190: D1D30392 064A7B3C
	v_max3_f32 v146, |v62|, |v63|, v146                        // 000000003198: D1D30392 064A7F3E
	v_max3_f32 v146, |v64|, |v65|, v146                        // 0000000031A0: D1D30392 064A8340
	v_max3_f32 v146, |v66|, |v67|, v146                        // 0000000031A8: D1D30392 064A8742
	v_max3_f32 v146, |v68|, |v69|, v146                        // 0000000031B0: D1D30392 064A8B44
	v_max3_f32 v146, |v70|, |v71|, v146                        // 0000000031B8: D1D30392 064A8F46
	v_max3_f32 v146, |v72|, |v73|, v146                        // 0000000031C0: D1D30392 064A9348
	v_max3_f32 v146, |v74|, |v75|, v146                        // 0000000031C8: D1D30392 064A974A
	v_mov_b32_e32 v147, 0x358637bd                             // 0000000031D0: 7F2602FF 358637BD
	v_max3_f32 v147, |v76|, |v77|, v147                        // 0000000031D8: D1D30393 064E9B4C
	v_max3_f32 v147, |v78|, |v79|, v147                        // 0000000031E0: D1D30393 064E9F4E
	v_max3_f32 v147, |v80|, |v81|, v147                        // 0000000031E8: D1D30393 064EA350
	v_max3_f32 v147, |v82|, |v83|, v147                        // 0000000031F0: D1D30393 064EA752
	v_max3_f32 v147, |v84|, |v85|, v147                        // 0000000031F8: D1D30393 064EAB54
	v_max3_f32 v147, |v86|, |v87|, v147                        // 000000003200: D1D30393 064EAF56
	v_max3_f32 v147, |v88|, |v89|, v147                        // 000000003208: D1D30393 064EB358
	v_max3_f32 v147, |v90|, |v91|, v147                        // 000000003210: D1D30393 064EB75A
	ds_write_b64 v210, v[146:147] offset:2304                  // 000000003218: D89A0900 000092D2
	buffer_load_dword v129, v202, s[28:31], 0 offen            // 000000003220: E0501000 800781CA
	v_sub_f32_e32 v140, v136, v138                             // 000000003228: 05191588
	v_cmp_eq_u32_e64 s[92:93], v191, v136                      // 00000000322C: D0CA005C 000311BF
	s_nop 0                                                    // 000000003234: BF800000
	v_cndmask_b32_e64 v140, v140, 0, s[92:93]                  // 000000003238: D100008C 0171018C
	v_mov_b32_e32 v136, v138                                   // 000000003240: 7F10038A
	v_mul_f32_e32 v140, s51, v140                              // 000000003244: 0B191833
	v_exp_f32_e32 v140, v140                                   // 000000003248: 7F18418C
	v_sub_f32_e32 v142, v137, v139                             // 00000000324C: 051D1789
	v_cmp_eq_u32_e64 s[92:93], v191, v137                      // 000000003250: D0CA005C 000313BF
	s_nop 0                                                    // 000000003258: BF800000
	v_cndmask_b32_e64 v142, v142, 0, s[92:93]                  // 00000000325C: D100008E 0171018E
	v_mov_b32_e32 v137, v139                                   // 000000003264: 7F12038B
	v_mul_f32_e32 v142, s51, v142                              // 000000003268: 0B1D1C33
	v_exp_f32_e32 v142, v142                                   // 00000000326C: 7F1C418E
	v_mov_b32_e32 v141, v140                                   // 000000003270: 7F1A038C
	v_mov_b32_e32 v143, v142                                   // 000000003274: 7F1E038E
	buffer_load_dword v131, v203, s[32:35], 0 offen            // 000000003278: E0501000 800883CB
	s_waitcnt lgkmcnt(0)                                       // 000000003280: BF8CC07F
	s_barrier                                                  // 000000003284: BF8A0000
	ds_read_b64 v[148:149], v211 offset:2304                   // 000000003288: D8EC0900 940000D3
	ds_read_b64 v[150:151], v211 offset:2432                   // 000000003290: D8EC0980 960000D3
	ds_read_b64 v[152:153], v211 offset:2560                   // 000000003298: D8EC0A00 980000D3
	ds_read_b64 v[154:155], v211 offset:2688                   // 0000000032A0: D8EC0A80 9A0000D3
	ds_read_b64 v[156:157], v211 offset:2816                   // 0000000032A8: D8EC0B00 9C0000D3
	ds_read_b64 v[158:159], v211 offset:2944                   // 0000000032B0: D8EC0B80 9E0000D3
	ds_read_b64 v[160:161], v211 offset:3072                   // 0000000032B8: D8EC0C00 A00000D3
	ds_read_b64 v[162:163], v211 offset:3200                   // 0000000032C0: D8EC0C80 A20000D3
	ds_read_b64 v[164:165], v211 offset:3328                   // 0000000032C8: D8EC0D00 A40000D3
	ds_read_b64 v[166:167], v211 offset:3456                   // 0000000032D0: D8EC0D80 A60000D3
	ds_read_b64 v[168:169], v211 offset:3584                   // 0000000032D8: D8EC0E00 A80000D3
	ds_read_b64 v[170:171], v211 offset:3712                   // 0000000032E0: D8EC0E80 AA0000D3
	ds_read_b64 v[172:173], v211 offset:3840                   // 0000000032E8: D8EC0F00 AC0000D3
	ds_read_b64 v[174:175], v211 offset:3968                   // 0000000032F0: D8EC0F80 AE0000D3
	ds_read_b64 v[176:177], v211 offset:4096                   // 0000000032F8: D8EC1000 B00000D3
	ds_read_b64 v[178:179], v211 offset:4224                   // 000000003300: D8EC1080 B20000D3
	v_mul_f32_e32 v144, v140, v144                             // 000000003308: 0B21218C
	v_add_f32_e32 v144, v28, v144                              // 00000000330C: 0321211C
	v_add_f32_e32 v144, v29, v144                              // 000000003310: 0321211D
	v_add_f32_e32 v144, v30, v144                              // 000000003314: 0321211E
	v_add_f32_e32 v144, v31, v144                              // 000000003318: 0321211F
	v_add_f32_e32 v144, v32, v144                              // 00000000331C: 03212120
	v_add_f32_e32 v144, v33, v144                              // 000000003320: 03212121
	v_add_f32_e32 v144, v34, v144                              // 000000003324: 03212122
	;; [unrolled: 1-line block ×3, first 2 shown]
	v_add_f32_e32 v144, v36, v144                              // 00000000332C: 03212124
	v_add_f32_e32 v144, v37, v144                              // 000000003330: 03212125
	v_add_f32_e32 v144, v38, v144                              // 000000003334: 03212126
	;; [unrolled: 1-line block ×3, first 2 shown]
	v_add_f32_e32 v144, v40, v144                              // 00000000333C: 03212128
	v_add_f32_e32 v144, v41, v144                              // 000000003340: 03212129
	v_add_f32_e32 v144, v42, v144                              // 000000003344: 0321212A
	v_add_f32_e32 v144, v43, v144                              // 000000003348: 0321212B
	v_mul_f32_e32 v145, v142, v145                             // 00000000334C: 0B23238E
	v_add_f32_e32 v145, v44, v145                              // 000000003350: 0323232C
	v_add_f32_e32 v145, v45, v145                              // 000000003354: 0323232D
	v_add_f32_e32 v145, v46, v145                              // 000000003358: 0323232E
	v_add_f32_e32 v145, v47, v145                              // 00000000335C: 0323232F
	v_add_f32_e32 v145, v48, v145                              // 000000003360: 03232330
	v_add_f32_e32 v145, v49, v145                              // 000000003364: 03232331
	v_add_f32_e32 v145, v50, v145                              // 000000003368: 03232332
	v_add_f32_e32 v145, v51, v145                              // 00000000336C: 03232333
	v_add_f32_e32 v145, v52, v145                              // 000000003370: 03232334
	v_add_f32_e32 v145, v53, v145                              // 000000003374: 03232335
	;; [unrolled: 1-line block ×3, first 2 shown]
	v_add_f32_e32 v145, v55, v145                              // 00000000337C: 03232337
	v_add_f32_e32 v145, v56, v145                              // 000000003380: 03232338
	v_add_f32_e32 v145, v57, v145                              // 000000003384: 03232339
	v_add_f32_e32 v145, v58, v145                              // 000000003388: 0323233A
	v_add_f32_e32 v145, v59, v145                              // 00000000338C: 0323233B
	s_waitcnt lgkmcnt(0)                                       // 000000003390: BF8CC07F
	v_max3_f32 v146, v148, v150, v146                          // 000000003394: D1D30092 064B2D94
	v_max3_f32 v147, v149, v151, v147                          // 00000000339C: D1D30093 064F2F95
	v_max3_f32 v146, v152, v154, v146                          // 0000000033A4: D1D30092 064B3598
	v_max3_f32 v147, v153, v155, v147                          // 0000000033AC: D1D30093 064F3799
	v_max3_f32 v146, v156, v158, v146                          // 0000000033B4: D1D30092 064B3D9C
	v_max3_f32 v147, v157, v159, v147                          // 0000000033BC: D1D30093 064F3F9D
	v_max3_f32 v146, v160, v162, v146                          // 0000000033C4: D1D30092 064B45A0
	v_max3_f32 v147, v161, v163, v147                          // 0000000033CC: D1D30093 064F47A1
	v_max3_f32 v146, v164, v166, v146                          // 0000000033D4: D1D30092 064B4DA4
	v_max3_f32 v147, v165, v167, v147                          // 0000000033DC: D1D30093 064F4FA5
	v_max3_f32 v146, v168, v170, v146                          // 0000000033E4: D1D30092 064B55A8
	v_max3_f32 v147, v169, v171, v147                          // 0000000033EC: D1D30093 064F57A9
	v_max3_f32 v146, v172, v174, v146                          // 0000000033F4: D1D30092 064B5DAC
	v_max3_f32 v147, v173, v175, v147                          // 0000000033FC: D1D30093 064F5FAD
	v_max3_f32 v146, v176, v178, v146                          // 000000003404: D1D30092 064B65B0
	v_max3_f32 v147, v177, v179, v147                          // 00000000340C: D1D30093 064F67B1
	v_rcp_f32_e32 v146, v146                                   // 000000003414: 7F244592
	v_rcp_f32_e32 v147, v147                                   // 000000003418: 7F264593
	v_mul_f32_e32 v146, 0x43700000, v146                       // 00000000341C: 0B2524FF 43700000
	v_mul_f32_e32 v147, 0x43700000, v147                       // 000000003424: 0B2726FF 43700000
	v_mul_f32_e32 v28, v146, v60                               // 00000000342C: 0A387992
	v_mul_f32_e32 v29, v146, v61                               // 000000003430: 0A3A7B92
	v_mul_f32_e32 v30, v146, v62                               // 000000003434: 0A3C7D92
	v_mul_f32_e32 v31, v146, v63                               // 000000003438: 0A3E7F92
	v_mul_f32_e32 v32, v146, v64                               // 00000000343C: 0A408192
	v_mul_f32_e32 v33, v146, v65                               // 000000003440: 0A428392
	v_mul_f32_e32 v34, v146, v66                               // 000000003444: 0A448592
	v_mul_f32_e32 v35, v146, v67                               // 000000003448: 0A468792
	v_mul_f32_e32 v36, v146, v68                               // 00000000344C: 0A488992
	v_mul_f32_e32 v37, v146, v69                               // 000000003450: 0A4A8B92
	v_mul_f32_e32 v38, v146, v70                               // 000000003454: 0A4C8D92
	v_mul_f32_e32 v39, v146, v71                               // 000000003458: 0A4E8F92
	v_mul_f32_e32 v40, v146, v72                               // 00000000345C: 0A509192
	v_mul_f32_e32 v41, v146, v73                               // 000000003460: 0A529392
	v_mul_f32_e32 v42, v146, v74                               // 000000003464: 0A549592
	v_mul_f32_e32 v43, v146, v75                               // 000000003468: 0A569792
	v_mul_f32_e32 v44, v147, v76                               // 00000000346C: 0A589993
	v_mul_f32_e32 v45, v147, v77                               // 000000003470: 0A5A9B93
	v_mul_f32_e32 v46, v147, v78                               // 000000003474: 0A5C9D93
	v_mul_f32_e32 v47, v147, v79                               // 000000003478: 0A5E9F93
	v_mul_f32_e32 v48, v147, v80                               // 00000000347C: 0A60A193
	v_mul_f32_e32 v49, v147, v81                               // 000000003480: 0A62A393
	v_mul_f32_e32 v50, v147, v82                               // 000000003484: 0A64A593
	v_mul_f32_e32 v51, v147, v83                               // 000000003488: 0A66A793
	v_mul_f32_e32 v52, v147, v84                               // 00000000348C: 0A68A993
	v_mul_f32_e32 v53, v147, v85                               // 000000003490: 0A6AAB93
	v_mul_f32_e32 v54, v147, v86                               // 000000003494: 0A6CAD93
	v_mul_f32_e32 v55, v147, v87                               // 000000003498: 0A6EAF93
	v_mul_f32_e32 v56, v147, v88                               // 00000000349C: 0A70B193
	v_mul_f32_e32 v57, v147, v89                               // 0000000034A0: 0A72B393
	v_mul_f32_e32 v58, v147, v90                               // 0000000034A4: 0A74B593
	v_mul_f32_e32 v59, v147, v91                               // 0000000034A8: 0A76B793
	v_cvt_pk_fp8_f32 v28, v28, v29                             // 0000000034AC: D2A2001C 00023B1C
	v_cvt_pk_fp8_f32 v28, v30, v31 op_sel:[0,0,1]              // 0000000034B4: D2A2401C 00023F1E
	v_cvt_pk_fp8_f32 v29, v32, v33                             // 0000000034BC: D2A2001D 00024320
	v_cvt_pk_fp8_f32 v29, v34, v35 op_sel:[0,0,1]              // 0000000034C4: D2A2401D 00024722
	v_cvt_pk_fp8_f32 v30, v36, v37                             // 0000000034CC: D2A2001E 00024B24
	v_cvt_pk_fp8_f32 v30, v38, v39 op_sel:[0,0,1]              // 0000000034D4: D2A2401E 00024F26
	v_cvt_pk_fp8_f32 v31, v40, v41                             // 0000000034DC: D2A2001F 00025328
	v_cvt_pk_fp8_f32 v31, v42, v43 op_sel:[0,0,1]              // 0000000034E4: D2A2401F 0002572A
	v_cvt_pk_fp8_f32 v32, v44, v45                             // 0000000034EC: D2A20020 00025B2C
	v_cvt_pk_fp8_f32 v32, v46, v47 op_sel:[0,0,1]              // 0000000034F4: D2A24020 00025F2E
	v_cvt_pk_fp8_f32 v33, v48, v49                             // 0000000034FC: D2A20021 00026330
	v_cvt_pk_fp8_f32 v33, v50, v51 op_sel:[0,0,1]              // 000000003504: D2A24021 00026732
	v_cvt_pk_fp8_f32 v34, v52, v53                             // 00000000350C: D2A20022 00026B34
	v_cvt_pk_fp8_f32 v34, v54, v55 op_sel:[0,0,1]              // 000000003514: D2A24022 00026F36
	v_cvt_pk_fp8_f32 v35, v56, v57                             // 00000000351C: D2A20023 00027338
	v_cvt_pk_fp8_f32 v35, v58, v59 op_sel:[0,0,1]              // 000000003524: D2A24023 0002773A
	ds_write_b32 v212, v28 offset:4608                         // 00000000352C: D81A1200 00001CD4
	ds_write_b32 v212, v29 offset:5632                         // 000000003534: D81A1600 00001DD4
	ds_write_b32 v212, v30 offset:6656                         // 00000000353C: D81A1A00 00001ED4
	ds_write_b32 v212, v31 offset:7680                         // 000000003544: D81A1E00 00001FD4
	ds_write_b32 v212, v32 offset:8704                         // 00000000354C: D81A2200 000020D4
	ds_write_b32 v212, v33 offset:9728                         // 000000003554: D81A2600 000021D4
	ds_write_b32 v212, v34 offset:10752                        // 00000000355C: D81A2A00 000022D4
	ds_write_b32 v212, v35 offset:11776                        // 000000003564: D81A2E00 000023D4
	v_rcp_f32_e32 v132, v146                                   // 00000000356C: 7F084592
	v_rcp_f32_e32 v134, v147                                   // 000000003570: 7F0C4593
	v_mov_b32_e32 v133, v132                                   // 000000003574: 7F0A0384
	v_mov_b32_e32 v135, v134                                   // 000000003578: 7F0E0386
	v_pk_add_f32 v[108:109], v[108:109], v[92:93]              // 00000000357C: D3B2406C 1802B96C
	v_pk_add_f32 v[110:111], v[110:111], v[94:95]              // 000000003584: D3B2406E 1802BD6E
	v_pk_add_f32 v[112:113], v[112:113], v[96:97]              // 00000000358C: D3B24070 1802C170
	v_pk_add_f32 v[114:115], v[114:115], v[98:99]              // 000000003594: D3B24072 1802C572
	v_pk_add_f32 v[116:117], v[116:117], v[100:101]            // 00000000359C: D3B24074 1802C974
	v_pk_add_f32 v[118:119], v[118:119], v[102:103]            // 0000000035A4: D3B24076 1802CD76
	v_pk_add_f32 v[120:121], v[120:121], v[104:105]            // 0000000035AC: D3B24078 1802D178
	v_pk_add_f32 v[122:123], v[122:123], v[106:107]            // 0000000035B4: D3B2407A 1802D57A
	s_waitcnt lgkmcnt(0)                                       // 0000000035BC: BF8CC07F
	s_barrier                                                  // 0000000035C0: BF8A0000
	ds_read_b128 v[28:31], v213 offset:4608                    // 0000000035C4: D9FE1200 1C0000D5
	ds_read_b128 v[32:35], v213 offset:5632                    // 0000000035CC: D9FE1600 200000D5
	ds_read_b128 v[36:39], v213 offset:6656                    // 0000000035D4: D9FE1A00 240000D5
	ds_read_b128 v[40:43], v213 offset:7680                    // 0000000035DC: D9FE1E00 280000D5
	ds_read_b128 v[44:47], v213 offset:8704                    // 0000000035E4: D9FE2200 2C0000D5
	ds_read_b128 v[48:51], v213 offset:9728                    // 0000000035EC: D9FE2600 300000D5
	ds_read_b128 v[52:55], v213 offset:10752                   // 0000000035F4: D9FE2A00 340000D5
	ds_read_b128 v[56:59], v213 offset:11776                   // 0000000035FC: D9FE2E00 380000D5
	s_waitcnt vmcnt(10)                                        // 000000003604: BF8C0F7A
	s_waitcnt lgkmcnt(7)                                       // 000000003608: BF8CC77F
	v_mfma_f32_16x16x32_fp8_fp8 v[92:95], a[64:65], v[28:29], 0// 00000000360C: D3F3005C 0A023940
	s_addk_i32 s62, 0x1                                        // 000000003614: B73E0001
	v_mfma_f32_16x16x32_fp8_fp8 v[96:99], a[80:81], v[28:29], 0// 000000003618: D3F30060 0A023950
	s_cmp_lt_u32 s62, s52                                      // 000000003620: BF0A343E
	s_cselect_b32 s63, 4, 0                                    // 000000003624: 853F8084
	v_mfma_f32_16x16x32_fp8_fp8 v[92:95], a[66:67], v[30:31], v[92:95]// 000000003628: D3F3005C 0D723D42
	buffer_load_dwordx4 a[96:99], v198, s[16:19], 0 offen      // 000000003630: E05C1000 808460C6
	v_mfma_f32_16x16x32_fp8_fp8 v[96:99], a[82:83], v[30:31], v[96:99]// 000000003638: D3F30060 0D823D52
	s_add_u32 s20, s20, s63                                    // 000000003640: 80143F14
	s_addc_u32 s21, s21, 0                                     // 000000003644: 82158015
	s_waitcnt lgkmcnt(6)                                       // 000000003648: BF8CC67F
	v_mfma_f32_16x16x32_fp8_fp8 v[92:95], a[68:69], v[32:33], v[92:95]// 00000000364C: D3F3005C 0D724144
	v_mfma_f32_16x16x32_fp8_fp8 v[96:99], a[84:85], v[32:33], v[96:99]// 000000003654: D3F30060 0D824154
	v_mfma_f32_16x16x32_fp8_fp8 v[92:95], a[70:71], v[34:35], v[92:95]// 00000000365C: D3F3005C 0D724546
	buffer_load_dwordx4 a[100:103], v199, s[16:19], 0 offen    // 000000003664: E05C1000 808464C7
	v_mfma_f32_16x16x32_fp8_fp8 v[96:99], a[86:87], v[34:35], v[96:99]// 00000000366C: D3F30060 0D824556
	s_waitcnt lgkmcnt(5)                                       // 000000003674: BF8CC57F
	v_mfma_f32_16x16x32_fp8_fp8 v[92:95], a[72:73], v[36:37], v[92:95]// 000000003678: D3F3005C 0D724948
	v_mfma_f32_16x16x32_fp8_fp8 v[96:99], a[88:89], v[36:37], v[96:99]// 000000003680: D3F30060 0D824958
	v_mfma_f32_16x16x32_fp8_fp8 v[92:95], a[74:75], v[38:39], v[92:95]// 000000003688: D3F3005C 0D724D4A
	buffer_load_dwordx4 a[104:107], v200, s[16:19], 0 offen    // 000000003690: E05C1000 808468C8
	v_mfma_f32_16x16x32_fp8_fp8 v[96:99], a[90:91], v[38:39], v[96:99]// 000000003698: D3F30060 0D824D5A
	s_waitcnt lgkmcnt(4)                                       // 0000000036A0: BF8CC47F
	v_mfma_f32_16x16x32_fp8_fp8 v[92:95], a[76:77], v[40:41], v[92:95]// 0000000036A4: D3F3005C 0D72514C
	v_mfma_f32_16x16x32_fp8_fp8 v[96:99], a[92:93], v[40:41], v[96:99]// 0000000036AC: D3F30060 0D82515C
	v_mfma_f32_16x16x32_fp8_fp8 v[92:95], a[78:79], v[42:43], v[92:95]// 0000000036B4: D3F3005C 0D72554E
	buffer_load_dwordx4 a[108:111], v201, s[16:19], 0 offen    // 0000000036BC: E05C1000 80846CC9
	v_mfma_f32_16x16x32_fp8_fp8 v[96:99], a[94:95], v[42:43], v[96:99]// 0000000036C4: D3F30060 0D82555E
	s_waitcnt lgkmcnt(3)                                       // 0000000036CC: BF8CC37F
	v_mfma_f32_16x16x32_fp8_fp8 v[100:103], a[64:65], v[44:45], 0// 0000000036D0: D3F30064 0A025940
	v_mfma_f32_16x16x32_fp8_fp8 v[104:107], a[80:81], v[44:45], 0// 0000000036D8: D3F30068 0A025950
	v_mfma_f32_16x16x32_fp8_fp8 v[100:103], a[66:67], v[46:47], v[100:103]// 0000000036E0: D3F30064 0D925D42
	buffer_load_dwordx4 a[112:115], v198, s[16:19], 0 offen offset:1024// 0000000036E8: E05C1400 808470C6
	v_mfma_f32_16x16x32_fp8_fp8 v[104:107], a[82:83], v[46:47], v[104:107]// 0000000036F0: D3F30068 0DA25D52
	s_waitcnt lgkmcnt(2)                                       // 0000000036F8: BF8CC27F
	v_mfma_f32_16x16x32_fp8_fp8 v[100:103], a[68:69], v[48:49], v[100:103]// 0000000036FC: D3F30064 0D926144
	v_mfma_f32_16x16x32_fp8_fp8 v[104:107], a[84:85], v[48:49], v[104:107]// 000000003704: D3F30068 0DA26154
	v_mfma_f32_16x16x32_fp8_fp8 v[100:103], a[70:71], v[50:51], v[100:103]// 00000000370C: D3F30064 0D926546
	buffer_load_dwordx4 a[116:119], v199, s[16:19], 0 offen offset:1024// 000000003714: E05C1400 808474C7
	v_mfma_f32_16x16x32_fp8_fp8 v[104:107], a[86:87], v[50:51], v[104:107]// 00000000371C: D3F30068 0DA26556
	s_waitcnt lgkmcnt(1)                                       // 000000003724: BF8CC17F
	v_mfma_f32_16x16x32_fp8_fp8 v[100:103], a[72:73], v[52:53], v[100:103]// 000000003728: D3F30064 0D926948
	v_mfma_f32_16x16x32_fp8_fp8 v[104:107], a[88:89], v[52:53], v[104:107]// 000000003730: D3F30068 0DA26958
	v_mfma_f32_16x16x32_fp8_fp8 v[100:103], a[74:75], v[54:55], v[100:103]// 000000003738: D3F30064 0D926D4A
	buffer_load_dwordx4 a[120:123], v200, s[16:19], 0 offen offset:1024// 000000003740: E05C1400 808478C8
	v_mfma_f32_16x16x32_fp8_fp8 v[104:107], a[90:91], v[54:55], v[104:107]// 000000003748: D3F30068 0DA26D5A
	s_waitcnt lgkmcnt(0)                                       // 000000003750: BF8CC07F
	v_mfma_f32_16x16x32_fp8_fp8 v[100:103], a[76:77], v[56:57], v[100:103]// 000000003754: D3F30064 0D92714C
	v_mfma_f32_16x16x32_fp8_fp8 v[104:107], a[92:93], v[56:57], v[104:107]// 00000000375C: D3F30068 0DA2715C
	v_mfma_f32_16x16x32_fp8_fp8 v[100:103], a[78:79], v[58:59], v[100:103]// 000000003764: D3F30064 0D92754E
	buffer_load_dwordx4 a[124:127], v201, s[16:19], 0 offen offset:1024// 00000000376C: E05C1400 80847CC9
	v_mfma_f32_16x16x32_fp8_fp8 v[104:107], a[94:95], v[58:59], v[104:107]// 000000003774: D3F30068 0DA2755E
	s_load_dword s61, s[20:21], 0x0                            // 00000000377C: C0020F4A 00000000
	s_addk_i32 s49, 0x100                                      // 000000003784: B7310100
	s_cmp_lt_i32 s49, s50                                      // 000000003788: BF043231
	s_cbranch_scc0 label_20D4                                  // 00000000378C: BF841B30
	s_waitcnt vmcnt(10)                                        // 000000003790: BF8C0F7A
	v_mfma_f32_16x16x32_fp8_fp8 v[28:31], a[32:33], v[12:13], 0// 000000003794: D3F3001C 0A021920
	s_add_u32 s12, s84, s64                                    // 00000000379C: 800C4054
	s_addc_u32 s13, s85, 0                                     // 0000000037A0: 820D8055
	v_mfma_f32_16x16x32_fp8_fp8 v[28:31], a[34:35], v[14:15], v[28:31]// 0000000037A4: D3F3001C 0C721D22
	s_add_u32 s16, s86, s65                                    // 0000000037AC: 80104156
	s_addc_u32 s17, s87, 0                                     // 0000000037B0: 82118057
	v_mfma_f32_16x16x32_fp8_fp8 v[28:31], a[36:37], v[16:17], v[28:31]// 0000000037B4: D3F3001C 0C722124
	buffer_load_dwordx4 a[0:3], v196, s[12:15], 0 offen        // 0000000037BC: E05C1000 808300C4
	v_mfma_f32_16x16x32_fp8_fp8 v[28:31], a[38:39], v[18:19], v[28:31]// 0000000037C4: D3F3001C 0C722526
	s_add_u32 s28, s88, s66                                    // 0000000037CC: 801C4258
	s_addc_u32 s29, s89, 0                                     // 0000000037D0: 821D8059
	v_mfma_f32_16x16x32_fp8_fp8 v[32:35], a[40:41], v[12:13], 0// 0000000037D4: D3F30020 0A021928
	s_add_u32 s32, s90, s66                                    // 0000000037DC: 8020425A
	s_addc_u32 s33, s91, 0                                     // 0000000037E0: 8221805B
	v_mfma_f32_16x16x32_fp8_fp8 v[32:35], a[42:43], v[14:15], v[32:35]// 0000000037E4: D3F30020 0C821D2A
	s_add_u32 s64, s64, 0x1000                                 // 0000000037EC: 8040FF40 00001000
	s_add_u32 s65, s65, 0x8000                                 // 0000000037F4: 8041FF41 00008000
	v_mfma_f32_16x16x32_fp8_fp8 v[32:35], a[44:45], v[16:17], v[32:35]// 0000000037FC: D3F30020 0C82212C
	buffer_load_dwordx4 a[4:7], v197, s[12:15], 0 offen        // 000000003804: E05C1000 808304C5
	v_mfma_f32_16x16x32_fp8_fp8 v[32:35], a[46:47], v[18:19], v[32:35]// 00000000380C: D3F30020 0C82252E
	s_add_u32 s66, s66, 0x400                                  // 000000003814: 8042FF42 00000400
	v_mfma_f32_16x16x32_fp8_fp8 v[36:39], a[48:49], v[12:13], 0// 00000000381C: D3F30024 0A021930
	v_mfma_f32_16x16x32_fp8_fp8 v[36:39], a[50:51], v[14:15], v[36:39]// 000000003824: D3F30024 0C921D32
	v_mfma_f32_16x16x32_fp8_fp8 v[36:39], a[52:53], v[16:17], v[36:39]// 00000000382C: D3F30024 0C922134
	buffer_load_dwordx4 a[8:11], v196, s[12:15], 0 offen offset:1024// 000000003834: E05C1400 808308C4
	v_mfma_f32_16x16x32_fp8_fp8 v[36:39], a[54:55], v[18:19], v[36:39]// 00000000383C: D3F30024 0C922536
	v_mfma_f32_16x16x32_fp8_fp8 v[40:43], a[56:57], v[12:13], 0// 000000003844: D3F30028 0A021938
	v_mfma_f32_16x16x32_fp8_fp8 v[40:43], a[58:59], v[14:15], v[40:43]// 00000000384C: D3F30028 0CA21D3A
	v_mfma_f32_16x16x32_fp8_fp8 v[40:43], a[60:61], v[16:17], v[40:43]// 000000003854: D3F30028 0CA2213C
	buffer_load_dwordx4 a[12:15], v197, s[12:15], 0 offen offset:1024// 00000000385C: E05C1400 80830CC5
	v_mfma_f32_16x16x32_fp8_fp8 v[40:43], a[62:63], v[18:19], v[40:43]// 000000003864: D3F30028 0CA2253E
	v_mfma_f32_16x16x32_fp8_fp8 v[44:47], a[32:33], v[20:21], 0// 00000000386C: D3F3002C 0A022920
	v_mfma_f32_16x16x32_fp8_fp8 v[44:47], a[34:35], v[22:23], v[44:47]// 000000003874: D3F3002C 0CB22D22
	v_mfma_f32_16x16x32_fp8_fp8 v[44:47], a[36:37], v[24:25], v[44:47]// 00000000387C: D3F3002C 0CB23124
	buffer_load_dwordx4 a[16:19], v196, s[12:15], 0 offen offset:2048// 000000003884: E05C1800 808310C4
	v_mfma_f32_16x16x32_fp8_fp8 v[44:47], a[38:39], v[26:27], v[44:47]// 00000000388C: D3F3002C 0CB23526
	v_mfma_f32_16x16x32_fp8_fp8 v[48:51], a[40:41], v[20:21], 0// 000000003894: D3F30030 0A022928
	v_mfma_f32_16x16x32_fp8_fp8 v[48:51], a[42:43], v[22:23], v[48:51]// 00000000389C: D3F30030 0CC22D2A
	v_mfma_f32_16x16x32_fp8_fp8 v[48:51], a[44:45], v[24:25], v[48:51]// 0000000038A4: D3F30030 0CC2312C
	buffer_load_dwordx4 a[20:23], v197, s[12:15], 0 offen offset:2048// 0000000038AC: E05C1800 808314C5
	v_mfma_f32_16x16x32_fp8_fp8 v[48:51], a[46:47], v[26:27], v[48:51]// 0000000038B4: D3F30030 0CC2352E
	v_mfma_f32_16x16x32_fp8_fp8 v[52:55], a[48:49], v[20:21], 0// 0000000038BC: D3F30034 0A022930
	v_mfma_f32_16x16x32_fp8_fp8 v[52:55], a[50:51], v[22:23], v[52:55]// 0000000038C4: D3F30034 0CD22D32
	v_mfma_f32_16x16x32_fp8_fp8 v[52:55], a[52:53], v[24:25], v[52:55]// 0000000038CC: D3F30034 0CD23134
	buffer_load_dwordx4 a[24:27], v196, s[12:15], 0 offen offset:3072// 0000000038D4: E05C1C00 808318C4
	v_mfma_f32_16x16x32_fp8_fp8 v[52:55], a[54:55], v[26:27], v[52:55]// 0000000038DC: D3F30034 0CD23536
	v_mfma_f32_16x16x32_fp8_fp8 v[56:59], a[56:57], v[20:21], 0// 0000000038E4: D3F30038 0A022938
	v_mfma_f32_16x16x32_fp8_fp8 v[56:59], a[58:59], v[22:23], v[56:59]// 0000000038EC: D3F30038 0CE22D3A
	v_mfma_f32_16x16x32_fp8_fp8 v[56:59], a[60:61], v[24:25], v[56:59]// 0000000038F4: D3F30038 0CE2313C
	buffer_load_dwordx4 a[28:31], v197, s[12:15], 0 offen offset:3072// 0000000038FC: E05C1C00 80831CC5
	v_mfma_f32_16x16x32_fp8_fp8 v[56:59], a[62:63], v[26:27], v[56:59]// 000000003904: D3F30038 0CE2353E
	s_waitcnt vmcnt(16)                                        // 00000000390C: BF8C4F70
	v_pk_mul_f32 v[28:29], v[124:125], v[28:29]                // 000000003910: D3B1401C 1802397C
	v_pk_mul_f32 v[30:31], v[124:125], v[30:31]                // 000000003918: D3B1401E 18023D7C
	v_mul_f32_dpp v28, v129, v28 row_newbcast:0 row_mask:0xf bank_mask:0xf// 000000003920: 0A3838FA FF015081
	v_mul_f32_dpp v29, v129, v29 row_newbcast:1 row_mask:0xf bank_mask:0xf// 000000003928: 0A3A3AFA FF015181
	v_mul_f32_dpp v30, v129, v30 row_newbcast:2 row_mask:0xf bank_mask:0xf// 000000003930: 0A3C3CFA FF015281
	v_mul_f32_dpp v31, v129, v31 row_newbcast:3 row_mask:0xf bank_mask:0xf// 000000003938: 0A3E3EFA FF015381
	v_pk_mul_f32 v[32:33], v[124:125], v[32:33]                // 000000003940: D3B14020 1802417C
	v_pk_mul_f32 v[34:35], v[124:125], v[34:35]                // 000000003948: D3B14022 1802457C
	v_mul_f32_dpp v32, v129, v32 row_newbcast:4 row_mask:0xf bank_mask:0xf// 000000003950: 0A4040FA FF015481
	v_mul_f32_dpp v33, v129, v33 row_newbcast:5 row_mask:0xf bank_mask:0xf// 000000003958: 0A4242FA FF015581
	v_mul_f32_dpp v34, v129, v34 row_newbcast:6 row_mask:0xf bank_mask:0xf// 000000003960: 0A4444FA FF015681
	v_mul_f32_dpp v35, v129, v35 row_newbcast:7 row_mask:0xf bank_mask:0xf// 000000003968: 0A4646FA FF015781
	v_pk_mul_f32 v[36:37], v[124:125], v[36:37]                // 000000003970: D3B14024 1802497C
	v_pk_mul_f32 v[38:39], v[124:125], v[38:39]                // 000000003978: D3B14026 18024D7C
	v_mul_f32_dpp v36, v129, v36 row_newbcast:8 row_mask:0xf bank_mask:0xf// 000000003980: 0A4848FA FF015881
	v_mul_f32_dpp v37, v129, v37 row_newbcast:9 row_mask:0xf bank_mask:0xf// 000000003988: 0A4A4AFA FF015981
	v_mul_f32_dpp v38, v129, v38 row_newbcast:10 row_mask:0xf bank_mask:0xf// 000000003990: 0A4C4CFA FF015A81
	v_mul_f32_dpp v39, v129, v39 row_newbcast:11 row_mask:0xf bank_mask:0xf// 000000003998: 0A4E4EFA FF015B81
	v_pk_mul_f32 v[40:41], v[124:125], v[40:41]                // 0000000039A0: D3B14028 1802517C
	v_pk_mul_f32 v[42:43], v[124:125], v[42:43]                // 0000000039A8: D3B1402A 1802557C
	v_mul_f32_dpp v40, v129, v40 row_newbcast:12 row_mask:0xf bank_mask:0xf// 0000000039B0: 0A5050FA FF015C81
	v_mul_f32_dpp v41, v129, v41 row_newbcast:13 row_mask:0xf bank_mask:0xf// 0000000039B8: 0A5252FA FF015D81
	v_mul_f32_dpp v42, v129, v42 row_newbcast:14 row_mask:0xf bank_mask:0xf// 0000000039C0: 0A5454FA FF015E81
	v_mul_f32_dpp v43, v129, v43 row_newbcast:15 row_mask:0xf bank_mask:0xf// 0000000039C8: 0A5656FA FF015F81
	v_pk_mul_f32 v[44:45], v[126:127], v[44:45]                // 0000000039D0: D3B1402C 1802597E
	v_pk_mul_f32 v[46:47], v[126:127], v[46:47]                // 0000000039D8: D3B1402E 18025D7E
	v_mul_f32_dpp v44, v129, v44 row_newbcast:0 row_mask:0xf bank_mask:0xf// 0000000039E0: 0A5858FA FF015081
	v_mul_f32_dpp v45, v129, v45 row_newbcast:1 row_mask:0xf bank_mask:0xf// 0000000039E8: 0A5A5AFA FF015181
	v_mul_f32_dpp v46, v129, v46 row_newbcast:2 row_mask:0xf bank_mask:0xf// 0000000039F0: 0A5C5CFA FF015281
	v_mul_f32_dpp v47, v129, v47 row_newbcast:3 row_mask:0xf bank_mask:0xf// 0000000039F8: 0A5E5EFA FF015381
	v_pk_mul_f32 v[48:49], v[126:127], v[48:49]                // 000000003A00: D3B14030 1802617E
	v_pk_mul_f32 v[50:51], v[126:127], v[50:51]                // 000000003A08: D3B14032 1802657E
	v_mul_f32_dpp v48, v129, v48 row_newbcast:4 row_mask:0xf bank_mask:0xf// 000000003A10: 0A6060FA FF015481
	v_mul_f32_dpp v49, v129, v49 row_newbcast:5 row_mask:0xf bank_mask:0xf// 000000003A18: 0A6262FA FF015581
	v_mul_f32_dpp v50, v129, v50 row_newbcast:6 row_mask:0xf bank_mask:0xf// 000000003A20: 0A6464FA FF015681
	v_mul_f32_dpp v51, v129, v51 row_newbcast:7 row_mask:0xf bank_mask:0xf// 000000003A28: 0A6666FA FF015781
	v_pk_mul_f32 v[52:53], v[126:127], v[52:53]                // 000000003A30: D3B14034 1802697E
	v_pk_mul_f32 v[54:55], v[126:127], v[54:55]                // 000000003A38: D3B14036 18026D7E
	v_mul_f32_dpp v52, v129, v52 row_newbcast:8 row_mask:0xf bank_mask:0xf// 000000003A40: 0A6868FA FF015881
	v_mul_f32_dpp v53, v129, v53 row_newbcast:9 row_mask:0xf bank_mask:0xf// 000000003A48: 0A6A6AFA FF015981
	v_mul_f32_dpp v54, v129, v54 row_newbcast:10 row_mask:0xf bank_mask:0xf// 000000003A50: 0A6C6CFA FF015A81
	v_mul_f32_dpp v55, v129, v55 row_newbcast:11 row_mask:0xf bank_mask:0xf// 000000003A58: 0A6E6EFA FF015B81
	v_pk_mul_f32 v[56:57], v[126:127], v[56:57]                // 000000003A60: D3B14038 1802717E
	v_pk_mul_f32 v[58:59], v[126:127], v[58:59]                // 000000003A68: D3B1403A 1802757E
	v_mul_f32_dpp v56, v129, v56 row_newbcast:12 row_mask:0xf bank_mask:0xf// 000000003A70: 0A7070FA FF015C81
	v_mul_f32_dpp v57, v129, v57 row_newbcast:13 row_mask:0xf bank_mask:0xf// 000000003A78: 0A7272FA FF015D81
	v_mul_f32_dpp v58, v129, v58 row_newbcast:14 row_mask:0xf bank_mask:0xf// 000000003A80: 0A7474FA FF015E81
	v_mul_f32_dpp v59, v129, v59 row_newbcast:15 row_mask:0xf bank_mask:0xf// 000000003A88: 0A7676FA FF015F81
	v_mov_b32_e32 v146, v28                                    // 000000003A90: 7F24031C
	v_max3_f32 v146, v28, v29, v146                            // 000000003A94: D1D30092 064A3B1C
	v_max3_f32 v146, v30, v31, v146                            // 000000003A9C: D1D30092 064A3F1E
	v_max3_f32 v146, v32, v33, v146                            // 000000003AA4: D1D30092 064A4320
	v_max3_f32 v146, v34, v35, v146                            // 000000003AAC: D1D30092 064A4722
	v_max3_f32 v146, v36, v37, v146                            // 000000003AB4: D1D30092 064A4B24
	v_max3_f32 v146, v38, v39, v146                            // 000000003ABC: D1D30092 064A4F26
	v_max3_f32 v146, v40, v41, v146                            // 000000003AC4: D1D30092 064A5328
	v_max3_f32 v146, v42, v43, v146                            // 000000003ACC: D1D30092 064A572A
	v_mov_b32_e32 v147, v44                                    // 000000003AD4: 7F26032C
	v_max3_f32 v147, v44, v45, v147                            // 000000003AD8: D1D30093 064E5B2C
	v_max3_f32 v147, v46, v47, v147                            // 000000003AE0: D1D30093 064E5F2E
	v_max3_f32 v147, v48, v49, v147                            // 000000003AE8: D1D30093 064E6330
	v_max3_f32 v147, v50, v51, v147                            // 000000003AF0: D1D30093 064E6732
	v_max3_f32 v147, v52, v53, v147                            // 000000003AF8: D1D30093 064E6B34
	v_max3_f32 v147, v54, v55, v147                            // 000000003B00: D1D30093 064E6F36
	v_max3_f32 v147, v56, v57, v147                            // 000000003B08: D1D30093 064E7338
	v_max3_f32 v147, v58, v59, v147                            // 000000003B10: D1D30093 064E773A
	ds_write_b64 v210, v[146:147]                              // 000000003B18: D89A0000 000092D2
	v_pk_mul_f32 v[108:109], v[140:141], v[108:109]            // 000000003B20: D3B1406C 1802D98C
	v_pk_mul_f32 v[110:111], v[140:141], v[110:111]            // 000000003B28: D3B1406E 1802DD8C
	v_pk_mul_f32 v[112:113], v[140:141], v[112:113]            // 000000003B30: D3B14070 1802E18C
	v_pk_mul_f32 v[114:115], v[140:141], v[114:115]            // 000000003B38: D3B14072 1802E58C
	v_pk_mul_f32 v[116:117], v[142:143], v[116:117]            // 000000003B40: D3B14074 1802E98E
	v_pk_mul_f32 v[118:119], v[142:143], v[118:119]            // 000000003B48: D3B14076 1802ED8E
	v_pk_mul_f32 v[120:121], v[142:143], v[120:121]            // 000000003B50: D3B14078 1802F18E
	v_pk_mul_f32 v[122:123], v[142:143], v[122:123]            // 000000003B58: D3B1407A 1802F58E
	s_waitcnt lgkmcnt(0)                                       // 000000003B60: BF8CC07F
	s_barrier                                                  // 000000003B64: BF8A0000
	ds_read_b64 v[148:149], v211                               // 000000003B68: D8EC0000 940000D3
	ds_read_b64 v[150:151], v211 offset:128                    // 000000003B70: D8EC0080 960000D3
	ds_read_b64 v[152:153], v211 offset:256                    // 000000003B78: D8EC0100 980000D3
	ds_read_b64 v[154:155], v211 offset:384                    // 000000003B80: D8EC0180 9A0000D3
	ds_read_b64 v[156:157], v211 offset:512                    // 000000003B88: D8EC0200 9C0000D3
	ds_read_b64 v[158:159], v211 offset:640                    // 000000003B90: D8EC0280 9E0000D3
	ds_read_b64 v[160:161], v211 offset:768                    // 000000003B98: D8EC0300 A00000D3
	ds_read_b64 v[162:163], v211 offset:896                    // 000000003BA0: D8EC0380 A20000D3
	ds_read_b64 v[164:165], v211 offset:1024                   // 000000003BA8: D8EC0400 A40000D3
	ds_read_b64 v[166:167], v211 offset:1152                   // 000000003BB0: D8EC0480 A60000D3
	ds_read_b64 v[168:169], v211 offset:1280                   // 000000003BB8: D8EC0500 A80000D3
	ds_read_b64 v[170:171], v211 offset:1408                   // 000000003BC0: D8EC0580 AA0000D3
	ds_read_b64 v[172:173], v211 offset:1536                   // 000000003BC8: D8EC0600 AC0000D3
	ds_read_b64 v[174:175], v211 offset:1664                   // 000000003BD0: D8EC0680 AE0000D3
	ds_read_b64 v[176:177], v211 offset:1792                   // 000000003BD8: D8EC0700 B00000D3
	ds_read_b64 v[178:179], v211 offset:1920                   // 000000003BE0: D8EC0780 B20000D3
	v_pk_mul_f32 v[92:93], v[132:133], v[92:93]                // 000000003BE8: D3B1405C 1802B984
	v_pk_mul_f32 v[94:95], v[132:133], v[94:95]                // 000000003BF0: D3B1405E 1802BD84
	v_pk_mul_f32 v[96:97], v[132:133], v[96:97]                // 000000003BF8: D3B14060 1802C184
	v_pk_mul_f32 v[98:99], v[132:133], v[98:99]                // 000000003C00: D3B14062 1802C584
	v_pk_mul_f32 v[100:101], v[134:135], v[100:101]            // 000000003C08: D3B14064 1802C986
	v_pk_mul_f32 v[102:103], v[134:135], v[102:103]            // 000000003C10: D3B14066 1802CD86
	v_pk_mul_f32 v[104:105], v[134:135], v[104:105]            // 000000003C18: D3B14068 1802D186
	v_pk_mul_f32 v[106:107], v[134:135], v[106:107]            // 000000003C20: D3B1406A 1802D586
	s_waitcnt lgkmcnt(0)                                       // 000000003C28: BF8CC07F
	v_max3_f32 v146, v148, v150, v146                          // 000000003C2C: D1D30092 064B2D94
	v_max3_f32 v147, v149, v151, v147                          // 000000003C34: D1D30093 064F2F95
	v_max3_f32 v146, v152, v154, v146                          // 000000003C3C: D1D30092 064B3598
	v_max3_f32 v147, v153, v155, v147                          // 000000003C44: D1D30093 064F3799
	v_max3_f32 v146, v156, v158, v146                          // 000000003C4C: D1D30092 064B3D9C
	v_max3_f32 v147, v157, v159, v147                          // 000000003C54: D1D30093 064F3F9D
	v_max3_f32 v146, v160, v162, v146                          // 000000003C5C: D1D30092 064B45A0
	v_max3_f32 v147, v161, v163, v147                          // 000000003C64: D1D30093 064F47A1
	v_max3_f32 v146, v164, v166, v146                          // 000000003C6C: D1D30092 064B4DA4
	v_max3_f32 v147, v165, v167, v147                          // 000000003C74: D1D30093 064F4FA5
	v_max3_f32 v146, v168, v170, v146                          // 000000003C7C: D1D30092 064B55A8
	v_max3_f32 v147, v169, v171, v147                          // 000000003C84: D1D30093 064F57A9
	v_max3_f32 v146, v172, v174, v146                          // 000000003C8C: D1D30092 064B5DAC
	v_max3_f32 v147, v173, v175, v147                          // 000000003C94: D1D30093 064F5FAD
	v_max3_f32 v146, v176, v178, v146                          // 000000003C9C: D1D30092 064B65B0
	v_max3_f32 v147, v177, v179, v147                          // 000000003CA4: D1D30093 064F67B1
	v_max_f32_e32 v138, v146, v136                             // 000000003CAC: 17151192
	v_mul_f32_e64 v180, -s51, v138                             // 000000003CB0: D10500B4 20031433
	v_mov_b32_e32 v181, v180                                   // 000000003CB8: 7F6A03B4
	v_pk_fma_f32 v[28:29], v[28:29], s[68:69], v[180:181]      // 000000003CBC: D3B0401C 1ED0891C
	v_pk_fma_f32 v[30:31], v[30:31], s[68:69], v[180:181]      // 000000003CC4: D3B0401E 1ED0891E
	v_exp_f32_e32 v28, v28                                     // 000000003CCC: 7E38411C
	v_exp_f32_e32 v29, v29                                     // 000000003CD0: 7E3A411D
	v_exp_f32_e32 v30, v30                                     // 000000003CD4: 7E3C411E
	v_exp_f32_e32 v31, v31                                     // 000000003CD8: 7E3E411F
	v_pk_fma_f32 v[32:33], v[32:33], s[68:69], v[180:181]      // 000000003CDC: D3B04020 1ED08920
	v_pk_fma_f32 v[34:35], v[34:35], s[68:69], v[180:181]      // 000000003CE4: D3B04022 1ED08922
	v_exp_f32_e32 v32, v32                                     // 000000003CEC: 7E404120
	v_exp_f32_e32 v33, v33                                     // 000000003CF0: 7E424121
	v_exp_f32_e32 v34, v34                                     // 000000003CF4: 7E444122
	v_exp_f32_e32 v35, v35                                     // 000000003CF8: 7E464123
	v_pk_fma_f32 v[36:37], v[36:37], s[68:69], v[180:181]      // 000000003CFC: D3B04024 1ED08924
	v_pk_fma_f32 v[38:39], v[38:39], s[68:69], v[180:181]      // 000000003D04: D3B04026 1ED08926
	v_exp_f32_e32 v36, v36                                     // 000000003D0C: 7E484124
	v_exp_f32_e32 v37, v37                                     // 000000003D10: 7E4A4125
	v_exp_f32_e32 v38, v38                                     // 000000003D14: 7E4C4126
	v_exp_f32_e32 v39, v39                                     // 000000003D18: 7E4E4127
	v_pk_fma_f32 v[40:41], v[40:41], s[68:69], v[180:181]      // 000000003D1C: D3B04028 1ED08928
	v_pk_fma_f32 v[42:43], v[42:43], s[68:69], v[180:181]      // 000000003D24: D3B0402A 1ED0892A
	v_exp_f32_e32 v40, v40                                     // 000000003D2C: 7E504128
	v_exp_f32_e32 v41, v41                                     // 000000003D30: 7E524129
	v_exp_f32_e32 v42, v42                                     // 000000003D34: 7E54412A
	v_exp_f32_e32 v43, v43                                     // 000000003D38: 7E56412B
	v_max_f32_e32 v139, v147, v137                             // 000000003D3C: 17171393
	v_mul_f32_e64 v180, -s51, v139                             // 000000003D40: D10500B4 20031633
	v_mov_b32_e32 v181, v180                                   // 000000003D48: 7F6A03B4
	v_pk_fma_f32 v[44:45], v[44:45], s[68:69], v[180:181]      // 000000003D4C: D3B0402C 1ED0892C
	v_pk_fma_f32 v[46:47], v[46:47], s[68:69], v[180:181]      // 000000003D54: D3B0402E 1ED0892E
	v_exp_f32_e32 v44, v44                                     // 000000003D5C: 7E58412C
	v_exp_f32_e32 v45, v45                                     // 000000003D60: 7E5A412D
	v_exp_f32_e32 v46, v46                                     // 000000003D64: 7E5C412E
	v_exp_f32_e32 v47, v47                                     // 000000003D68: 7E5E412F
	v_pk_fma_f32 v[48:49], v[48:49], s[68:69], v[180:181]      // 000000003D6C: D3B04030 1ED08930
	v_pk_fma_f32 v[50:51], v[50:51], s[68:69], v[180:181]      // 000000003D74: D3B04032 1ED08932
	v_exp_f32_e32 v48, v48                                     // 000000003D7C: 7E604130
	v_exp_f32_e32 v49, v49                                     // 000000003D80: 7E624131
	v_exp_f32_e32 v50, v50                                     // 000000003D84: 7E644132
	v_exp_f32_e32 v51, v51                                     // 000000003D88: 7E664133
	v_pk_fma_f32 v[52:53], v[52:53], s[68:69], v[180:181]      // 000000003D8C: D3B04034 1ED08934
	v_pk_fma_f32 v[54:55], v[54:55], s[68:69], v[180:181]      // 000000003D94: D3B04036 1ED08936
	v_exp_f32_e32 v52, v52                                     // 000000003D9C: 7E684134
	v_exp_f32_e32 v53, v53                                     // 000000003DA0: 7E6A4135
	v_exp_f32_e32 v54, v54                                     // 000000003DA4: 7E6C4136
	v_exp_f32_e32 v55, v55                                     // 000000003DA8: 7E6E4137
	v_pk_fma_f32 v[56:57], v[56:57], s[68:69], v[180:181]      // 000000003DAC: D3B04038 1ED08938
	v_pk_fma_f32 v[58:59], v[58:59], s[68:69], v[180:181]      // 000000003DB4: D3B0403A 1ED0893A
	v_exp_f32_e32 v56, v56                                     // 000000003DBC: 7E704138
	v_exp_f32_e32 v57, v57                                     // 000000003DC0: 7E724139
	v_exp_f32_e32 v58, v58                                     // 000000003DC4: 7E74413A
	v_exp_f32_e32 v59, v59                                     // 000000003DC8: 7E76413B
	v_mul_f32_dpp v60, v131, v28 row_newbcast:0 row_mask:0xf bank_mask:0xf// 000000003DCC: 0A7838FA FF015083
	v_mul_f32_dpp v61, v131, v29 row_newbcast:1 row_mask:0xf bank_mask:0xf// 000000003DD4: 0A7A3AFA FF015183
	v_mul_f32_dpp v62, v131, v30 row_newbcast:2 row_mask:0xf bank_mask:0xf// 000000003DDC: 0A7C3CFA FF015283
	v_mul_f32_dpp v63, v131, v31 row_newbcast:3 row_mask:0xf bank_mask:0xf// 000000003DE4: 0A7E3EFA FF015383
	v_mul_f32_dpp v64, v131, v32 row_newbcast:4 row_mask:0xf bank_mask:0xf// 000000003DEC: 0A8040FA FF015483
	v_mul_f32_dpp v65, v131, v33 row_newbcast:5 row_mask:0xf bank_mask:0xf// 000000003DF4: 0A8242FA FF015583
	v_mul_f32_dpp v66, v131, v34 row_newbcast:6 row_mask:0xf bank_mask:0xf// 000000003DFC: 0A8444FA FF015683
	v_mul_f32_dpp v67, v131, v35 row_newbcast:7 row_mask:0xf bank_mask:0xf// 000000003E04: 0A8646FA FF015783
	v_mul_f32_dpp v68, v131, v36 row_newbcast:8 row_mask:0xf bank_mask:0xf// 000000003E0C: 0A8848FA FF015883
	v_mul_f32_dpp v69, v131, v37 row_newbcast:9 row_mask:0xf bank_mask:0xf// 000000003E14: 0A8A4AFA FF015983
	v_mul_f32_dpp v70, v131, v38 row_newbcast:10 row_mask:0xf bank_mask:0xf// 000000003E1C: 0A8C4CFA FF015A83
	v_mul_f32_dpp v71, v131, v39 row_newbcast:11 row_mask:0xf bank_mask:0xf// 000000003E24: 0A8E4EFA FF015B83
	v_mul_f32_dpp v72, v131, v40 row_newbcast:12 row_mask:0xf bank_mask:0xf// 000000003E2C: 0A9050FA FF015C83
	v_mul_f32_dpp v73, v131, v41 row_newbcast:13 row_mask:0xf bank_mask:0xf// 000000003E34: 0A9252FA FF015D83
	v_mul_f32_dpp v74, v131, v42 row_newbcast:14 row_mask:0xf bank_mask:0xf// 000000003E3C: 0A9454FA FF015E83
	v_mul_f32_dpp v75, v131, v43 row_newbcast:15 row_mask:0xf bank_mask:0xf// 000000003E44: 0A9656FA FF015F83
	v_mul_f32_dpp v76, v131, v44 row_newbcast:0 row_mask:0xf bank_mask:0xf// 000000003E4C: 0A9858FA FF015083
	v_mul_f32_dpp v77, v131, v45 row_newbcast:1 row_mask:0xf bank_mask:0xf// 000000003E54: 0A9A5AFA FF015183
	v_mul_f32_dpp v78, v131, v46 row_newbcast:2 row_mask:0xf bank_mask:0xf// 000000003E5C: 0A9C5CFA FF015283
	v_mul_f32_dpp v79, v131, v47 row_newbcast:3 row_mask:0xf bank_mask:0xf// 000000003E64: 0A9E5EFA FF015383
	v_mul_f32_dpp v80, v131, v48 row_newbcast:4 row_mask:0xf bank_mask:0xf// 000000003E6C: 0AA060FA FF015483
	v_mul_f32_dpp v81, v131, v49 row_newbcast:5 row_mask:0xf bank_mask:0xf// 000000003E74: 0AA262FA FF015583
	v_mul_f32_dpp v82, v131, v50 row_newbcast:6 row_mask:0xf bank_mask:0xf// 000000003E7C: 0AA464FA FF015683
	v_mul_f32_dpp v83, v131, v51 row_newbcast:7 row_mask:0xf bank_mask:0xf// 000000003E84: 0AA666FA FF015783
	v_mul_f32_dpp v84, v131, v52 row_newbcast:8 row_mask:0xf bank_mask:0xf// 000000003E8C: 0AA868FA FF015883
	v_mul_f32_dpp v85, v131, v53 row_newbcast:9 row_mask:0xf bank_mask:0xf// 000000003E94: 0AAA6AFA FF015983
	v_mul_f32_dpp v86, v131, v54 row_newbcast:10 row_mask:0xf bank_mask:0xf// 000000003E9C: 0AAC6CFA FF015A83
	v_mul_f32_dpp v87, v131, v55 row_newbcast:11 row_mask:0xf bank_mask:0xf// 000000003EA4: 0AAE6EFA FF015B83
	v_mul_f32_dpp v88, v131, v56 row_newbcast:12 row_mask:0xf bank_mask:0xf// 000000003EAC: 0AB070FA FF015C83
	v_mul_f32_dpp v89, v131, v57 row_newbcast:13 row_mask:0xf bank_mask:0xf// 000000003EB4: 0AB272FA FF015D83
	v_mul_f32_dpp v90, v131, v58 row_newbcast:14 row_mask:0xf bank_mask:0xf// 000000003EBC: 0AB474FA FF015E83
	v_mul_f32_dpp v91, v131, v59 row_newbcast:15 row_mask:0xf bank_mask:0xf// 000000003EC4: 0AB676FA FF015F83
	v_mov_b32_e32 v146, 0x358637bd                             // 000000003ECC: 7F2402FF 358637BD
	v_max3_f32 v146, |v60|, |v61|, v146                        // 000000003ED4: D1D30392 064A7B3C
	v_max3_f32 v146, |v62|, |v63|, v146                        // 000000003EDC: D1D30392 064A7F3E
	v_max3_f32 v146, |v64|, |v65|, v146                        // 000000003EE4: D1D30392 064A8340
	v_max3_f32 v146, |v66|, |v67|, v146                        // 000000003EEC: D1D30392 064A8742
	v_max3_f32 v146, |v68|, |v69|, v146                        // 000000003EF4: D1D30392 064A8B44
	v_max3_f32 v146, |v70|, |v71|, v146                        // 000000003EFC: D1D30392 064A8F46
	v_max3_f32 v146, |v72|, |v73|, v146                        // 000000003F04: D1D30392 064A9348
	v_max3_f32 v146, |v74|, |v75|, v146                        // 000000003F0C: D1D30392 064A974A
	v_mov_b32_e32 v147, 0x358637bd                             // 000000003F14: 7F2602FF 358637BD
	v_max3_f32 v147, |v76|, |v77|, v147                        // 000000003F1C: D1D30393 064E9B4C
	v_max3_f32 v147, |v78|, |v79|, v147                        // 000000003F24: D1D30393 064E9F4E
	v_max3_f32 v147, |v80|, |v81|, v147                        // 000000003F2C: D1D30393 064EA350
	v_max3_f32 v147, |v82|, |v83|, v147                        // 000000003F34: D1D30393 064EA752
	v_max3_f32 v147, |v84|, |v85|, v147                        // 000000003F3C: D1D30393 064EAB54
	v_max3_f32 v147, |v86|, |v87|, v147                        // 000000003F44: D1D30393 064EAF56
	v_max3_f32 v147, |v88|, |v89|, v147                        // 000000003F4C: D1D30393 064EB358
	v_max3_f32 v147, |v90|, |v91|, v147                        // 000000003F54: D1D30393 064EB75A
	ds_write_b64 v210, v[146:147] offset:2304                  // 000000003F5C: D89A0900 000092D2
	buffer_load_dword v128, v202, s[28:31], 0 offen            // 000000003F64: E0501000 800780CA
	v_sub_f32_e32 v140, v136, v138                             // 000000003F6C: 05191588
	v_cmp_eq_u32_e64 s[92:93], v191, v136                      // 000000003F70: D0CA005C 000311BF
	s_nop 0                                                    // 000000003F78: BF800000
	v_cndmask_b32_e64 v140, v140, 0, s[92:93]                  // 000000003F7C: D100008C 0171018C
	v_mov_b32_e32 v136, v138                                   // 000000003F84: 7F10038A
	v_mul_f32_e32 v140, s51, v140                              // 000000003F88: 0B191833
	v_exp_f32_e32 v140, v140                                   // 000000003F8C: 7F18418C
	v_sub_f32_e32 v142, v137, v139                             // 000000003F90: 051D1789
	v_cmp_eq_u32_e64 s[92:93], v191, v137                      // 000000003F94: D0CA005C 000313BF
	s_nop 0                                                    // 000000003F9C: BF800000
	v_cndmask_b32_e64 v142, v142, 0, s[92:93]                  // 000000003FA0: D100008E 0171018E
	v_mov_b32_e32 v137, v139                                   // 000000003FA8: 7F12038B
	v_mul_f32_e32 v142, s51, v142                              // 000000003FAC: 0B1D1C33
	v_exp_f32_e32 v142, v142                                   // 000000003FB0: 7F1C418E
	v_mov_b32_e32 v141, v140                                   // 000000003FB4: 7F1A038C
	v_mov_b32_e32 v143, v142                                   // 000000003FB8: 7F1E038E
	buffer_load_dword v130, v203, s[32:35], 0 offen            // 000000003FBC: E0501000 800882CB
	s_waitcnt lgkmcnt(0)                                       // 000000003FC4: BF8CC07F
	s_barrier                                                  // 000000003FC8: BF8A0000
	ds_read_b64 v[148:149], v211 offset:2304                   // 000000003FCC: D8EC0900 940000D3
	ds_read_b64 v[150:151], v211 offset:2432                   // 000000003FD4: D8EC0980 960000D3
	ds_read_b64 v[152:153], v211 offset:2560                   // 000000003FDC: D8EC0A00 980000D3
	ds_read_b64 v[154:155], v211 offset:2688                   // 000000003FE4: D8EC0A80 9A0000D3
	ds_read_b64 v[156:157], v211 offset:2816                   // 000000003FEC: D8EC0B00 9C0000D3
	ds_read_b64 v[158:159], v211 offset:2944                   // 000000003FF4: D8EC0B80 9E0000D3
	ds_read_b64 v[160:161], v211 offset:3072                   // 000000003FFC: D8EC0C00 A00000D3
	ds_read_b64 v[162:163], v211 offset:3200                   // 000000004004: D8EC0C80 A20000D3
	ds_read_b64 v[164:165], v211 offset:3328                   // 00000000400C: D8EC0D00 A40000D3
	ds_read_b64 v[166:167], v211 offset:3456                   // 000000004014: D8EC0D80 A60000D3
	ds_read_b64 v[168:169], v211 offset:3584                   // 00000000401C: D8EC0E00 A80000D3
	ds_read_b64 v[170:171], v211 offset:3712                   // 000000004024: D8EC0E80 AA0000D3
	ds_read_b64 v[172:173], v211 offset:3840                   // 00000000402C: D8EC0F00 AC0000D3
	ds_read_b64 v[174:175], v211 offset:3968                   // 000000004034: D8EC0F80 AE0000D3
	ds_read_b64 v[176:177], v211 offset:4096                   // 00000000403C: D8EC1000 B00000D3
	ds_read_b64 v[178:179], v211 offset:4224                   // 000000004044: D8EC1080 B20000D3
	v_mul_f32_e32 v144, v140, v144                             // 00000000404C: 0B21218C
	v_add_f32_e32 v144, v28, v144                              // 000000004050: 0321211C
	v_add_f32_e32 v144, v29, v144                              // 000000004054: 0321211D
	v_add_f32_e32 v144, v30, v144                              // 000000004058: 0321211E
	v_add_f32_e32 v144, v31, v144                              // 00000000405C: 0321211F
	v_add_f32_e32 v144, v32, v144                              // 000000004060: 03212120
	v_add_f32_e32 v144, v33, v144                              // 000000004064: 03212121
	;; [unrolled: 1-line block ×3, first 2 shown]
	v_add_f32_e32 v144, v35, v144                              // 00000000406C: 03212123
	v_add_f32_e32 v144, v36, v144                              // 000000004070: 03212124
	v_add_f32_e32 v144, v37, v144                              // 000000004074: 03212125
	;; [unrolled: 1-line block ×3, first 2 shown]
	v_add_f32_e32 v144, v39, v144                              // 00000000407C: 03212127
	v_add_f32_e32 v144, v40, v144                              // 000000004080: 03212128
	v_add_f32_e32 v144, v41, v144                              // 000000004084: 03212129
	v_add_f32_e32 v144, v42, v144                              // 000000004088: 0321212A
	v_add_f32_e32 v144, v43, v144                              // 00000000408C: 0321212B
	v_mul_f32_e32 v145, v142, v145                             // 000000004090: 0B23238E
	v_add_f32_e32 v145, v44, v145                              // 000000004094: 0323232C
	v_add_f32_e32 v145, v45, v145                              // 000000004098: 0323232D
	v_add_f32_e32 v145, v46, v145                              // 00000000409C: 0323232E
	v_add_f32_e32 v145, v47, v145                              // 0000000040A0: 0323232F
	v_add_f32_e32 v145, v48, v145                              // 0000000040A4: 03232330
	v_add_f32_e32 v145, v49, v145                              // 0000000040A8: 03232331
	v_add_f32_e32 v145, v50, v145                              // 0000000040AC: 03232332
	v_add_f32_e32 v145, v51, v145                              // 0000000040B0: 03232333
	v_add_f32_e32 v145, v52, v145                              // 0000000040B4: 03232334
	v_add_f32_e32 v145, v53, v145                              // 0000000040B8: 03232335
	v_add_f32_e32 v145, v54, v145                              // 0000000040BC: 03232336
	v_add_f32_e32 v145, v55, v145                              // 0000000040C0: 03232337
	v_add_f32_e32 v145, v56, v145                              // 0000000040C4: 03232338
	v_add_f32_e32 v145, v57, v145                              // 0000000040C8: 03232339
	v_add_f32_e32 v145, v58, v145                              // 0000000040CC: 0323233A
	v_add_f32_e32 v145, v59, v145                              // 0000000040D0: 0323233B
	s_waitcnt lgkmcnt(0)                                       // 0000000040D4: BF8CC07F
	v_max3_f32 v146, v148, v150, v146                          // 0000000040D8: D1D30092 064B2D94
	v_max3_f32 v147, v149, v151, v147                          // 0000000040E0: D1D30093 064F2F95
	v_max3_f32 v146, v152, v154, v146                          // 0000000040E8: D1D30092 064B3598
	v_max3_f32 v147, v153, v155, v147                          // 0000000040F0: D1D30093 064F3799
	v_max3_f32 v146, v156, v158, v146                          // 0000000040F8: D1D30092 064B3D9C
	v_max3_f32 v147, v157, v159, v147                          // 000000004100: D1D30093 064F3F9D
	v_max3_f32 v146, v160, v162, v146                          // 000000004108: D1D30092 064B45A0
	v_max3_f32 v147, v161, v163, v147                          // 000000004110: D1D30093 064F47A1
	v_max3_f32 v146, v164, v166, v146                          // 000000004118: D1D30092 064B4DA4
	v_max3_f32 v147, v165, v167, v147                          // 000000004120: D1D30093 064F4FA5
	v_max3_f32 v146, v168, v170, v146                          // 000000004128: D1D30092 064B55A8
	v_max3_f32 v147, v169, v171, v147                          // 000000004130: D1D30093 064F57A9
	v_max3_f32 v146, v172, v174, v146                          // 000000004138: D1D30092 064B5DAC
	v_max3_f32 v147, v173, v175, v147                          // 000000004140: D1D30093 064F5FAD
	v_max3_f32 v146, v176, v178, v146                          // 000000004148: D1D30092 064B65B0
	v_max3_f32 v147, v177, v179, v147                          // 000000004150: D1D30093 064F67B1
	v_rcp_f32_e32 v146, v146                                   // 000000004158: 7F244592
	v_rcp_f32_e32 v147, v147                                   // 00000000415C: 7F264593
	v_mul_f32_e32 v146, 0x43700000, v146                       // 000000004160: 0B2524FF 43700000
	v_mul_f32_e32 v147, 0x43700000, v147                       // 000000004168: 0B2726FF 43700000
	v_mul_f32_e32 v28, v146, v60                               // 000000004170: 0A387992
	v_mul_f32_e32 v29, v146, v61                               // 000000004174: 0A3A7B92
	v_mul_f32_e32 v30, v146, v62                               // 000000004178: 0A3C7D92
	v_mul_f32_e32 v31, v146, v63                               // 00000000417C: 0A3E7F92
	v_mul_f32_e32 v32, v146, v64                               // 000000004180: 0A408192
	v_mul_f32_e32 v33, v146, v65                               // 000000004184: 0A428392
	v_mul_f32_e32 v34, v146, v66                               // 000000004188: 0A448592
	v_mul_f32_e32 v35, v146, v67                               // 00000000418C: 0A468792
	v_mul_f32_e32 v36, v146, v68                               // 000000004190: 0A488992
	v_mul_f32_e32 v37, v146, v69                               // 000000004194: 0A4A8B92
	v_mul_f32_e32 v38, v146, v70                               // 000000004198: 0A4C8D92
	v_mul_f32_e32 v39, v146, v71                               // 00000000419C: 0A4E8F92
	v_mul_f32_e32 v40, v146, v72                               // 0000000041A0: 0A509192
	v_mul_f32_e32 v41, v146, v73                               // 0000000041A4: 0A529392
	v_mul_f32_e32 v42, v146, v74                               // 0000000041A8: 0A549592
	v_mul_f32_e32 v43, v146, v75                               // 0000000041AC: 0A569792
	v_mul_f32_e32 v44, v147, v76                               // 0000000041B0: 0A589993
	v_mul_f32_e32 v45, v147, v77                               // 0000000041B4: 0A5A9B93
	v_mul_f32_e32 v46, v147, v78                               // 0000000041B8: 0A5C9D93
	v_mul_f32_e32 v47, v147, v79                               // 0000000041BC: 0A5E9F93
	v_mul_f32_e32 v48, v147, v80                               // 0000000041C0: 0A60A193
	v_mul_f32_e32 v49, v147, v81                               // 0000000041C4: 0A62A393
	v_mul_f32_e32 v50, v147, v82                               // 0000000041C8: 0A64A593
	v_mul_f32_e32 v51, v147, v83                               // 0000000041CC: 0A66A793
	v_mul_f32_e32 v52, v147, v84                               // 0000000041D0: 0A68A993
	v_mul_f32_e32 v53, v147, v85                               // 0000000041D4: 0A6AAB93
	v_mul_f32_e32 v54, v147, v86                               // 0000000041D8: 0A6CAD93
	v_mul_f32_e32 v55, v147, v87                               // 0000000041DC: 0A6EAF93
	v_mul_f32_e32 v56, v147, v88                               // 0000000041E0: 0A70B193
	v_mul_f32_e32 v57, v147, v89                               // 0000000041E4: 0A72B393
	v_mul_f32_e32 v58, v147, v90                               // 0000000041E8: 0A74B593
	v_mul_f32_e32 v59, v147, v91                               // 0000000041EC: 0A76B793
	v_cvt_pk_fp8_f32 v28, v28, v29                             // 0000000041F0: D2A2001C 00023B1C
	v_cvt_pk_fp8_f32 v28, v30, v31 op_sel:[0,0,1]              // 0000000041F8: D2A2401C 00023F1E
	v_cvt_pk_fp8_f32 v29, v32, v33                             // 000000004200: D2A2001D 00024320
	v_cvt_pk_fp8_f32 v29, v34, v35 op_sel:[0,0,1]              // 000000004208: D2A2401D 00024722
	v_cvt_pk_fp8_f32 v30, v36, v37                             // 000000004210: D2A2001E 00024B24
	v_cvt_pk_fp8_f32 v30, v38, v39 op_sel:[0,0,1]              // 000000004218: D2A2401E 00024F26
	v_cvt_pk_fp8_f32 v31, v40, v41                             // 000000004220: D2A2001F 00025328
	v_cvt_pk_fp8_f32 v31, v42, v43 op_sel:[0,0,1]              // 000000004228: D2A2401F 0002572A
	v_cvt_pk_fp8_f32 v32, v44, v45                             // 000000004230: D2A20020 00025B2C
	v_cvt_pk_fp8_f32 v32, v46, v47 op_sel:[0,0,1]              // 000000004238: D2A24020 00025F2E
	v_cvt_pk_fp8_f32 v33, v48, v49                             // 000000004240: D2A20021 00026330
	v_cvt_pk_fp8_f32 v33, v50, v51 op_sel:[0,0,1]              // 000000004248: D2A24021 00026732
	v_cvt_pk_fp8_f32 v34, v52, v53                             // 000000004250: D2A20022 00026B34
	v_cvt_pk_fp8_f32 v34, v54, v55 op_sel:[0,0,1]              // 000000004258: D2A24022 00026F36
	v_cvt_pk_fp8_f32 v35, v56, v57                             // 000000004260: D2A20023 00027338
	v_cvt_pk_fp8_f32 v35, v58, v59 op_sel:[0,0,1]              // 000000004268: D2A24023 0002773A
	ds_write_b32 v212, v28 offset:4608                         // 000000004270: D81A1200 00001CD4
	ds_write_b32 v212, v29 offset:5632                         // 000000004278: D81A1600 00001DD4
	ds_write_b32 v212, v30 offset:6656                         // 000000004280: D81A1A00 00001ED4
	ds_write_b32 v212, v31 offset:7680                         // 000000004288: D81A1E00 00001FD4
	ds_write_b32 v212, v32 offset:8704                         // 000000004290: D81A2200 000020D4
	ds_write_b32 v212, v33 offset:9728                         // 000000004298: D81A2600 000021D4
	ds_write_b32 v212, v34 offset:10752                        // 0000000042A0: D81A2A00 000022D4
	ds_write_b32 v212, v35 offset:11776                        // 0000000042A8: D81A2E00 000023D4
	v_rcp_f32_e32 v132, v146                                   // 0000000042B0: 7F084592
	v_rcp_f32_e32 v134, v147                                   // 0000000042B4: 7F0C4593
	v_mov_b32_e32 v133, v132                                   // 0000000042B8: 7F0A0384
	v_mov_b32_e32 v135, v134                                   // 0000000042BC: 7F0E0386
	v_pk_add_f32 v[108:109], v[108:109], v[92:93]              // 0000000042C0: D3B2406C 1802B96C
	v_pk_add_f32 v[110:111], v[110:111], v[94:95]              // 0000000042C8: D3B2406E 1802BD6E
	v_pk_add_f32 v[112:113], v[112:113], v[96:97]              // 0000000042D0: D3B24070 1802C170
	v_pk_add_f32 v[114:115], v[114:115], v[98:99]              // 0000000042D8: D3B24072 1802C572
	v_pk_add_f32 v[116:117], v[116:117], v[100:101]            // 0000000042E0: D3B24074 1802C974
	v_pk_add_f32 v[118:119], v[118:119], v[102:103]            // 0000000042E8: D3B24076 1802CD76
	v_pk_add_f32 v[120:121], v[120:121], v[104:105]            // 0000000042F0: D3B24078 1802D178
	v_pk_add_f32 v[122:123], v[122:123], v[106:107]            // 0000000042F8: D3B2407A 1802D57A
	s_waitcnt lgkmcnt(0)                                       // 000000004300: BF8CC07F
	s_barrier                                                  // 000000004304: BF8A0000
	ds_read_b128 v[28:31], v213 offset:4608                    // 000000004308: D9FE1200 1C0000D5
	ds_read_b128 v[32:35], v213 offset:5632                    // 000000004310: D9FE1600 200000D5
	ds_read_b128 v[36:39], v213 offset:6656                    // 000000004318: D9FE1A00 240000D5
	ds_read_b128 v[40:43], v213 offset:7680                    // 000000004320: D9FE1E00 280000D5
	ds_read_b128 v[44:47], v213 offset:8704                    // 000000004328: D9FE2200 2C0000D5
	ds_read_b128 v[48:51], v213 offset:9728                    // 000000004330: D9FE2600 300000D5
	ds_read_b128 v[52:55], v213 offset:10752                   // 000000004338: D9FE2A00 340000D5
	ds_read_b128 v[56:59], v213 offset:11776                   // 000000004340: D9FE2E00 380000D5
	s_waitcnt vmcnt(10)                                        // 000000004348: BF8C0F7A
	s_waitcnt lgkmcnt(7)                                       // 00000000434C: BF8CC77F
	v_mfma_f32_16x16x32_fp8_fp8 v[92:95], a[96:97], v[28:29], 0// 000000004350: D3F3005C 0A023960
	v_mfma_f32_16x16x32_fp8_fp8 v[96:99], a[112:113], v[28:29], 0// 000000004358: D3F30060 0A023970
	v_mfma_f32_16x16x32_fp8_fp8 v[92:95], a[98:99], v[30:31], v[92:95]// 000000004360: D3F3005C 0D723D62
	buffer_load_dwordx4 a[64:67], v198, s[16:19], 0 offen      // 000000004368: E05C1000 808440C6
	v_mfma_f32_16x16x32_fp8_fp8 v[96:99], a[114:115], v[30:31], v[96:99]// 000000004370: D3F30060 0D823D72
	s_waitcnt lgkmcnt(6)                                       // 000000004378: BF8CC67F
	v_mfma_f32_16x16x32_fp8_fp8 v[92:95], a[100:101], v[32:33], v[92:95]// 00000000437C: D3F3005C 0D724164
	v_mfma_f32_16x16x32_fp8_fp8 v[96:99], a[116:117], v[32:33], v[96:99]// 000000004384: D3F30060 0D824174
	v_mfma_f32_16x16x32_fp8_fp8 v[92:95], a[102:103], v[34:35], v[92:95]// 00000000438C: D3F3005C 0D724566
	buffer_load_dwordx4 a[68:71], v199, s[16:19], 0 offen      // 000000004394: E05C1000 808444C7
	v_mfma_f32_16x16x32_fp8_fp8 v[96:99], a[118:119], v[34:35], v[96:99]// 00000000439C: D3F30060 0D824576
	s_waitcnt lgkmcnt(5)                                       // 0000000043A4: BF8CC57F
	v_mfma_f32_16x16x32_fp8_fp8 v[92:95], a[104:105], v[36:37], v[92:95]// 0000000043A8: D3F3005C 0D724968
	v_mfma_f32_16x16x32_fp8_fp8 v[96:99], a[120:121], v[36:37], v[96:99]// 0000000043B0: D3F30060 0D824978
	v_mfma_f32_16x16x32_fp8_fp8 v[92:95], a[106:107], v[38:39], v[92:95]// 0000000043B8: D3F3005C 0D724D6A
	buffer_load_dwordx4 a[72:75], v200, s[16:19], 0 offen      // 0000000043C0: E05C1000 808448C8
	v_mfma_f32_16x16x32_fp8_fp8 v[96:99], a[122:123], v[38:39], v[96:99]// 0000000043C8: D3F30060 0D824D7A
	s_waitcnt lgkmcnt(4)                                       // 0000000043D0: BF8CC47F
	v_mfma_f32_16x16x32_fp8_fp8 v[92:95], a[108:109], v[40:41], v[92:95]// 0000000043D4: D3F3005C 0D72516C
	v_mfma_f32_16x16x32_fp8_fp8 v[96:99], a[124:125], v[40:41], v[96:99]// 0000000043DC: D3F30060 0D82517C
	v_mfma_f32_16x16x32_fp8_fp8 v[92:95], a[110:111], v[42:43], v[92:95]// 0000000043E4: D3F3005C 0D72556E
	buffer_load_dwordx4 a[76:79], v201, s[16:19], 0 offen      // 0000000043EC: E05C1000 80844CC9
	v_mfma_f32_16x16x32_fp8_fp8 v[96:99], a[126:127], v[42:43], v[96:99]// 0000000043F4: D3F30060 0D82557E
	s_waitcnt lgkmcnt(3)                                       // 0000000043FC: BF8CC37F
	v_mfma_f32_16x16x32_fp8_fp8 v[100:103], a[96:97], v[44:45], 0// 000000004400: D3F30064 0A025960
	v_mfma_f32_16x16x32_fp8_fp8 v[104:107], a[112:113], v[44:45], 0// 000000004408: D3F30068 0A025970
	v_mfma_f32_16x16x32_fp8_fp8 v[100:103], a[98:99], v[46:47], v[100:103]// 000000004410: D3F30064 0D925D62
	buffer_load_dwordx4 a[80:83], v198, s[16:19], 0 offen offset:1024// 000000004418: E05C1400 808450C6
	v_mfma_f32_16x16x32_fp8_fp8 v[104:107], a[114:115], v[46:47], v[104:107]// 000000004420: D3F30068 0DA25D72
	s_waitcnt lgkmcnt(2)                                       // 000000004428: BF8CC27F
	v_mfma_f32_16x16x32_fp8_fp8 v[100:103], a[100:101], v[48:49], v[100:103]// 00000000442C: D3F30064 0D926164
	v_mfma_f32_16x16x32_fp8_fp8 v[104:107], a[116:117], v[48:49], v[104:107]// 000000004434: D3F30068 0DA26174
	v_mfma_f32_16x16x32_fp8_fp8 v[100:103], a[102:103], v[50:51], v[100:103]// 00000000443C: D3F30064 0D926566
	buffer_load_dwordx4 a[84:87], v199, s[16:19], 0 offen offset:1024// 000000004444: E05C1400 808454C7
	v_mfma_f32_16x16x32_fp8_fp8 v[104:107], a[118:119], v[50:51], v[104:107]// 00000000444C: D3F30068 0DA26576
	s_waitcnt lgkmcnt(1)                                       // 000000004454: BF8CC17F
	v_mfma_f32_16x16x32_fp8_fp8 v[100:103], a[104:105], v[52:53], v[100:103]// 000000004458: D3F30064 0D926968
	v_mfma_f32_16x16x32_fp8_fp8 v[104:107], a[120:121], v[52:53], v[104:107]// 000000004460: D3F30068 0DA26978
	v_mfma_f32_16x16x32_fp8_fp8 v[100:103], a[106:107], v[54:55], v[100:103]// 000000004468: D3F30064 0D926D6A
	buffer_load_dwordx4 a[88:91], v200, s[16:19], 0 offen offset:1024// 000000004470: E05C1400 808458C8
	v_mfma_f32_16x16x32_fp8_fp8 v[104:107], a[122:123], v[54:55], v[104:107]// 000000004478: D3F30068 0DA26D7A
	s_waitcnt lgkmcnt(0)                                       // 000000004480: BF8CC07F
	v_mfma_f32_16x16x32_fp8_fp8 v[100:103], a[108:109], v[56:57], v[100:103]// 000000004484: D3F30064 0D92716C
	v_mfma_f32_16x16x32_fp8_fp8 v[104:107], a[124:125], v[56:57], v[104:107]// 00000000448C: D3F30068 0DA2717C
	v_mfma_f32_16x16x32_fp8_fp8 v[100:103], a[110:111], v[58:59], v[100:103]// 000000004494: D3F30064 0D92756E
	buffer_load_dwordx4 a[92:95], v201, s[16:19], 0 offen offset:1024// 00000000449C: E05C1400 80845CC9
	v_mfma_f32_16x16x32_fp8_fp8 v[104:107], a[126:127], v[58:59], v[104:107]// 0000000044A4: D3F30068 0DA2757E
	s_addk_i32 s49, 0x100                                      // 0000000044AC: B7310100
	s_cmp_lt_i32 s49, s50                                      // 0000000044B0: BF043231
	s_cbranch_scc0 label_24F6                                  // 0000000044B4: BF841C08
	s_waitcnt vmcnt(10)                                        // 0000000044B8: BF8C0F7A
	v_mfma_f32_16x16x32_fp8_fp8 v[28:31], a[0:1], v[12:13], 0  // 0000000044BC: D3F3001C 0A021900
	s_add_u32 s12, s84, s64                                    // 0000000044C4: 800C4054
	s_addc_u32 s13, s85, 0                                     // 0000000044C8: 820D8055
	v_mfma_f32_16x16x32_fp8_fp8 v[28:31], a[2:3], v[14:15], v[28:31]// 0000000044CC: D3F3001C 0C721D02
	s_add_u32 s16, s86, s65                                    // 0000000044D4: 80104156
	s_addc_u32 s17, s87, 0                                     // 0000000044D8: 82118057
	v_mfma_f32_16x16x32_fp8_fp8 v[28:31], a[4:5], v[16:17], v[28:31]// 0000000044DC: D3F3001C 0C722104
	buffer_load_dwordx4 a[32:35], v196, s[12:15], 0 offen      // 0000000044E4: E05C1000 808320C4
	v_mfma_f32_16x16x32_fp8_fp8 v[28:31], a[6:7], v[18:19], v[28:31]// 0000000044EC: D3F3001C 0C722506
	s_add_u32 s28, s88, s66                                    // 0000000044F4: 801C4258
	s_addc_u32 s29, s89, 0                                     // 0000000044F8: 821D8059
	v_mfma_f32_16x16x32_fp8_fp8 v[32:35], a[8:9], v[12:13], 0  // 0000000044FC: D3F30020 0A021908
	s_add_u32 s32, s90, s66                                    // 000000004504: 8020425A
	s_addc_u32 s33, s91, 0                                     // 000000004508: 8221805B
	v_mfma_f32_16x16x32_fp8_fp8 v[32:35], a[10:11], v[14:15], v[32:35]// 00000000450C: D3F30020 0C821D0A
	s_mul_i32 s64, s61, s56                                    // 000000004514: 9240383D
	s_mov_b32 s65, s64                                         // 000000004518: BEC10040
	v_mfma_f32_16x16x32_fp8_fp8 v[32:35], a[12:13], v[16:17], v[32:35]// 00000000451C: D3F30020 0C82210C
	buffer_load_dwordx4 a[36:39], v197, s[12:15], 0 offen      // 000000004524: E05C1000 808324C5
	v_mfma_f32_16x16x32_fp8_fp8 v[32:35], a[14:15], v[18:19], v[32:35]// 00000000452C: D3F30020 0C82250E
	s_mul_i32 s66, s61, s58                                    // 000000004534: 92423A3D
	v_mfma_f32_16x16x32_fp8_fp8 v[36:39], a[16:17], v[12:13], 0// 000000004538: D3F30024 0A021910
	v_mfma_f32_16x16x32_fp8_fp8 v[36:39], a[18:19], v[14:15], v[36:39]// 000000004540: D3F30024 0C921D12
	v_mfma_f32_16x16x32_fp8_fp8 v[36:39], a[20:21], v[16:17], v[36:39]// 000000004548: D3F30024 0C922114
	buffer_load_dwordx4 a[40:43], v196, s[12:15], 0 offen offset:1024// 000000004550: E05C1400 808328C4
	v_mfma_f32_16x16x32_fp8_fp8 v[36:39], a[22:23], v[18:19], v[36:39]// 000000004558: D3F30024 0C922516
	v_mfma_f32_16x16x32_fp8_fp8 v[40:43], a[24:25], v[12:13], 0// 000000004560: D3F30028 0A021918
	v_mfma_f32_16x16x32_fp8_fp8 v[40:43], a[26:27], v[14:15], v[40:43]// 000000004568: D3F30028 0CA21D1A
	v_mfma_f32_16x16x32_fp8_fp8 v[40:43], a[28:29], v[16:17], v[40:43]// 000000004570: D3F30028 0CA2211C
	buffer_load_dwordx4 a[44:47], v197, s[12:15], 0 offen offset:1024// 000000004578: E05C1400 80832CC5
	v_mfma_f32_16x16x32_fp8_fp8 v[40:43], a[30:31], v[18:19], v[40:43]// 000000004580: D3F30028 0CA2251E
	v_mfma_f32_16x16x32_fp8_fp8 v[44:47], a[0:1], v[20:21], 0  // 000000004588: D3F3002C 0A022900
	v_mfma_f32_16x16x32_fp8_fp8 v[44:47], a[2:3], v[22:23], v[44:47]// 000000004590: D3F3002C 0CB22D02
	v_mfma_f32_16x16x32_fp8_fp8 v[44:47], a[4:5], v[24:25], v[44:47]// 000000004598: D3F3002C 0CB23104
	buffer_load_dwordx4 a[48:51], v196, s[12:15], 0 offen offset:2048// 0000000045A0: E05C1800 808330C4
	v_mfma_f32_16x16x32_fp8_fp8 v[44:47], a[6:7], v[26:27], v[44:47]// 0000000045A8: D3F3002C 0CB23506
	v_mfma_f32_16x16x32_fp8_fp8 v[48:51], a[8:9], v[20:21], 0  // 0000000045B0: D3F30030 0A022908
	v_mfma_f32_16x16x32_fp8_fp8 v[48:51], a[10:11], v[22:23], v[48:51]// 0000000045B8: D3F30030 0CC22D0A
	v_mfma_f32_16x16x32_fp8_fp8 v[48:51], a[12:13], v[24:25], v[48:51]// 0000000045C0: D3F30030 0CC2310C
	buffer_load_dwordx4 a[52:55], v197, s[12:15], 0 offen offset:2048// 0000000045C8: E05C1800 808334C5
	v_mfma_f32_16x16x32_fp8_fp8 v[48:51], a[14:15], v[26:27], v[48:51]// 0000000045D0: D3F30030 0CC2350E
	v_mfma_f32_16x16x32_fp8_fp8 v[52:55], a[16:17], v[20:21], 0// 0000000045D8: D3F30034 0A022910
	v_mfma_f32_16x16x32_fp8_fp8 v[52:55], a[18:19], v[22:23], v[52:55]// 0000000045E0: D3F30034 0CD22D12
	v_mfma_f32_16x16x32_fp8_fp8 v[52:55], a[20:21], v[24:25], v[52:55]// 0000000045E8: D3F30034 0CD23114
	buffer_load_dwordx4 a[56:59], v196, s[12:15], 0 offen offset:3072// 0000000045F0: E05C1C00 808338C4
	v_mfma_f32_16x16x32_fp8_fp8 v[52:55], a[22:23], v[26:27], v[52:55]// 0000000045F8: D3F30034 0CD23516
	v_mfma_f32_16x16x32_fp8_fp8 v[56:59], a[24:25], v[20:21], 0// 000000004600: D3F30038 0A022918
	v_mfma_f32_16x16x32_fp8_fp8 v[56:59], a[26:27], v[22:23], v[56:59]// 000000004608: D3F30038 0CE22D1A
	v_mfma_f32_16x16x32_fp8_fp8 v[56:59], a[28:29], v[24:25], v[56:59]// 000000004610: D3F30038 0CE2311C
	buffer_load_dwordx4 a[60:63], v197, s[12:15], 0 offen offset:3072// 000000004618: E05C1C00 80833CC5
	v_mfma_f32_16x16x32_fp8_fp8 v[56:59], a[30:31], v[26:27], v[56:59]// 000000004620: D3F30038 0CE2351E
	s_waitcnt vmcnt(16)                                        // 000000004628: BF8C4F70
	v_pk_mul_f32 v[28:29], v[124:125], v[28:29]                // 00000000462C: D3B1401C 1802397C
	v_pk_mul_f32 v[30:31], v[124:125], v[30:31]                // 000000004634: D3B1401E 18023D7C
	v_mul_f32_dpp v28, v128, v28 row_newbcast:0 row_mask:0xf bank_mask:0xf// 00000000463C: 0A3838FA FF015080
	v_mul_f32_dpp v29, v128, v29 row_newbcast:1 row_mask:0xf bank_mask:0xf// 000000004644: 0A3A3AFA FF015180
	v_mul_f32_dpp v30, v128, v30 row_newbcast:2 row_mask:0xf bank_mask:0xf// 00000000464C: 0A3C3CFA FF015280
	v_mul_f32_dpp v31, v128, v31 row_newbcast:3 row_mask:0xf bank_mask:0xf// 000000004654: 0A3E3EFA FF015380
	v_pk_mul_f32 v[32:33], v[124:125], v[32:33]                // 00000000465C: D3B14020 1802417C
	v_pk_mul_f32 v[34:35], v[124:125], v[34:35]                // 000000004664: D3B14022 1802457C
	v_mul_f32_dpp v32, v128, v32 row_newbcast:4 row_mask:0xf bank_mask:0xf// 00000000466C: 0A4040FA FF015480
	v_mul_f32_dpp v33, v128, v33 row_newbcast:5 row_mask:0xf bank_mask:0xf// 000000004674: 0A4242FA FF015580
	v_mul_f32_dpp v34, v128, v34 row_newbcast:6 row_mask:0xf bank_mask:0xf// 00000000467C: 0A4444FA FF015680
	v_mul_f32_dpp v35, v128, v35 row_newbcast:7 row_mask:0xf bank_mask:0xf// 000000004684: 0A4646FA FF015780
	v_pk_mul_f32 v[36:37], v[124:125], v[36:37]                // 00000000468C: D3B14024 1802497C
	v_pk_mul_f32 v[38:39], v[124:125], v[38:39]                // 000000004694: D3B14026 18024D7C
	v_mul_f32_dpp v36, v128, v36 row_newbcast:8 row_mask:0xf bank_mask:0xf// 00000000469C: 0A4848FA FF015880
	v_mul_f32_dpp v37, v128, v37 row_newbcast:9 row_mask:0xf bank_mask:0xf// 0000000046A4: 0A4A4AFA FF015980
	v_mul_f32_dpp v38, v128, v38 row_newbcast:10 row_mask:0xf bank_mask:0xf// 0000000046AC: 0A4C4CFA FF015A80
	v_mul_f32_dpp v39, v128, v39 row_newbcast:11 row_mask:0xf bank_mask:0xf// 0000000046B4: 0A4E4EFA FF015B80
	v_pk_mul_f32 v[40:41], v[124:125], v[40:41]                // 0000000046BC: D3B14028 1802517C
	v_pk_mul_f32 v[42:43], v[124:125], v[42:43]                // 0000000046C4: D3B1402A 1802557C
	v_mul_f32_dpp v40, v128, v40 row_newbcast:12 row_mask:0xf bank_mask:0xf// 0000000046CC: 0A5050FA FF015C80
	v_mul_f32_dpp v41, v128, v41 row_newbcast:13 row_mask:0xf bank_mask:0xf// 0000000046D4: 0A5252FA FF015D80
	v_mul_f32_dpp v42, v128, v42 row_newbcast:14 row_mask:0xf bank_mask:0xf// 0000000046DC: 0A5454FA FF015E80
	v_mul_f32_dpp v43, v128, v43 row_newbcast:15 row_mask:0xf bank_mask:0xf// 0000000046E4: 0A5656FA FF015F80
	v_pk_mul_f32 v[44:45], v[126:127], v[44:45]                // 0000000046EC: D3B1402C 1802597E
	v_pk_mul_f32 v[46:47], v[126:127], v[46:47]                // 0000000046F4: D3B1402E 18025D7E
	v_mul_f32_dpp v44, v128, v44 row_newbcast:0 row_mask:0xf bank_mask:0xf// 0000000046FC: 0A5858FA FF015080
	v_mul_f32_dpp v45, v128, v45 row_newbcast:1 row_mask:0xf bank_mask:0xf// 000000004704: 0A5A5AFA FF015180
	v_mul_f32_dpp v46, v128, v46 row_newbcast:2 row_mask:0xf bank_mask:0xf// 00000000470C: 0A5C5CFA FF015280
	v_mul_f32_dpp v47, v128, v47 row_newbcast:3 row_mask:0xf bank_mask:0xf// 000000004714: 0A5E5EFA FF015380
	v_pk_mul_f32 v[48:49], v[126:127], v[48:49]                // 00000000471C: D3B14030 1802617E
	v_pk_mul_f32 v[50:51], v[126:127], v[50:51]                // 000000004724: D3B14032 1802657E
	v_mul_f32_dpp v48, v128, v48 row_newbcast:4 row_mask:0xf bank_mask:0xf// 00000000472C: 0A6060FA FF015480
	v_mul_f32_dpp v49, v128, v49 row_newbcast:5 row_mask:0xf bank_mask:0xf// 000000004734: 0A6262FA FF015580
	v_mul_f32_dpp v50, v128, v50 row_newbcast:6 row_mask:0xf bank_mask:0xf// 00000000473C: 0A6464FA FF015680
	v_mul_f32_dpp v51, v128, v51 row_newbcast:7 row_mask:0xf bank_mask:0xf// 000000004744: 0A6666FA FF015780
	v_pk_mul_f32 v[52:53], v[126:127], v[52:53]                // 00000000474C: D3B14034 1802697E
	v_pk_mul_f32 v[54:55], v[126:127], v[54:55]                // 000000004754: D3B14036 18026D7E
	v_mul_f32_dpp v52, v128, v52 row_newbcast:8 row_mask:0xf bank_mask:0xf// 00000000475C: 0A6868FA FF015880
	v_mul_f32_dpp v53, v128, v53 row_newbcast:9 row_mask:0xf bank_mask:0xf// 000000004764: 0A6A6AFA FF015980
	v_mul_f32_dpp v54, v128, v54 row_newbcast:10 row_mask:0xf bank_mask:0xf// 00000000476C: 0A6C6CFA FF015A80
	v_mul_f32_dpp v55, v128, v55 row_newbcast:11 row_mask:0xf bank_mask:0xf// 000000004774: 0A6E6EFA FF015B80
	v_pk_mul_f32 v[56:57], v[126:127], v[56:57]                // 00000000477C: D3B14038 1802717E
	v_pk_mul_f32 v[58:59], v[126:127], v[58:59]                // 000000004784: D3B1403A 1802757E
	v_mul_f32_dpp v56, v128, v56 row_newbcast:12 row_mask:0xf bank_mask:0xf// 00000000478C: 0A7070FA FF015C80
	v_mul_f32_dpp v57, v128, v57 row_newbcast:13 row_mask:0xf bank_mask:0xf// 000000004794: 0A7272FA FF015D80
	v_mul_f32_dpp v58, v128, v58 row_newbcast:14 row_mask:0xf bank_mask:0xf// 00000000479C: 0A7474FA FF015E80
	v_mul_f32_dpp v59, v128, v59 row_newbcast:15 row_mask:0xf bank_mask:0xf// 0000000047A4: 0A7676FA FF015F80
	v_mov_b32_e32 v146, v28                                    // 0000000047AC: 7F24031C
	v_max3_f32 v146, v28, v29, v146                            // 0000000047B0: D1D30092 064A3B1C
	v_max3_f32 v146, v30, v31, v146                            // 0000000047B8: D1D30092 064A3F1E
	v_max3_f32 v146, v32, v33, v146                            // 0000000047C0: D1D30092 064A4320
	v_max3_f32 v146, v34, v35, v146                            // 0000000047C8: D1D30092 064A4722
	v_max3_f32 v146, v36, v37, v146                            // 0000000047D0: D1D30092 064A4B24
	v_max3_f32 v146, v38, v39, v146                            // 0000000047D8: D1D30092 064A4F26
	v_max3_f32 v146, v40, v41, v146                            // 0000000047E0: D1D30092 064A5328
	v_max3_f32 v146, v42, v43, v146                            // 0000000047E8: D1D30092 064A572A
	v_mov_b32_e32 v147, v44                                    // 0000000047F0: 7F26032C
	v_max3_f32 v147, v44, v45, v147                            // 0000000047F4: D1D30093 064E5B2C
	v_max3_f32 v147, v46, v47, v147                            // 0000000047FC: D1D30093 064E5F2E
	v_max3_f32 v147, v48, v49, v147                            // 000000004804: D1D30093 064E6330
	v_max3_f32 v147, v50, v51, v147                            // 00000000480C: D1D30093 064E6732
	v_max3_f32 v147, v52, v53, v147                            // 000000004814: D1D30093 064E6B34
	v_max3_f32 v147, v54, v55, v147                            // 00000000481C: D1D30093 064E6F36
	v_max3_f32 v147, v56, v57, v147                            // 000000004824: D1D30093 064E7338
	v_max3_f32 v147, v58, v59, v147                            // 00000000482C: D1D30093 064E773A
	ds_write_b64 v210, v[146:147]                              // 000000004834: D89A0000 000092D2
	v_pk_mul_f32 v[108:109], v[140:141], v[108:109]            // 00000000483C: D3B1406C 1802D98C
	v_pk_mul_f32 v[110:111], v[140:141], v[110:111]            // 000000004844: D3B1406E 1802DD8C
	v_pk_mul_f32 v[112:113], v[140:141], v[112:113]            // 00000000484C: D3B14070 1802E18C
	v_pk_mul_f32 v[114:115], v[140:141], v[114:115]            // 000000004854: D3B14072 1802E58C
	v_pk_mul_f32 v[116:117], v[142:143], v[116:117]            // 00000000485C: D3B14074 1802E98E
	v_pk_mul_f32 v[118:119], v[142:143], v[118:119]            // 000000004864: D3B14076 1802ED8E
	v_pk_mul_f32 v[120:121], v[142:143], v[120:121]            // 00000000486C: D3B14078 1802F18E
	v_pk_mul_f32 v[122:123], v[142:143], v[122:123]            // 000000004874: D3B1407A 1802F58E
	s_waitcnt lgkmcnt(0)                                       // 00000000487C: BF8CC07F
	s_barrier                                                  // 000000004880: BF8A0000
	ds_read_b64 v[148:149], v211                               // 000000004884: D8EC0000 940000D3
	ds_read_b64 v[150:151], v211 offset:128                    // 00000000488C: D8EC0080 960000D3
	ds_read_b64 v[152:153], v211 offset:256                    // 000000004894: D8EC0100 980000D3
	ds_read_b64 v[154:155], v211 offset:384                    // 00000000489C: D8EC0180 9A0000D3
	ds_read_b64 v[156:157], v211 offset:512                    // 0000000048A4: D8EC0200 9C0000D3
	ds_read_b64 v[158:159], v211 offset:640                    // 0000000048AC: D8EC0280 9E0000D3
	ds_read_b64 v[160:161], v211 offset:768                    // 0000000048B4: D8EC0300 A00000D3
	ds_read_b64 v[162:163], v211 offset:896                    // 0000000048BC: D8EC0380 A20000D3
	ds_read_b64 v[164:165], v211 offset:1024                   // 0000000048C4: D8EC0400 A40000D3
	ds_read_b64 v[166:167], v211 offset:1152                   // 0000000048CC: D8EC0480 A60000D3
	ds_read_b64 v[168:169], v211 offset:1280                   // 0000000048D4: D8EC0500 A80000D3
	ds_read_b64 v[170:171], v211 offset:1408                   // 0000000048DC: D8EC0580 AA0000D3
	ds_read_b64 v[172:173], v211 offset:1536                   // 0000000048E4: D8EC0600 AC0000D3
	ds_read_b64 v[174:175], v211 offset:1664                   // 0000000048EC: D8EC0680 AE0000D3
	ds_read_b64 v[176:177], v211 offset:1792                   // 0000000048F4: D8EC0700 B00000D3
	ds_read_b64 v[178:179], v211 offset:1920                   // 0000000048FC: D8EC0780 B20000D3
	v_pk_mul_f32 v[92:93], v[132:133], v[92:93]                // 000000004904: D3B1405C 1802B984
	v_pk_mul_f32 v[94:95], v[132:133], v[94:95]                // 00000000490C: D3B1405E 1802BD84
	v_pk_mul_f32 v[96:97], v[132:133], v[96:97]                // 000000004914: D3B14060 1802C184
	v_pk_mul_f32 v[98:99], v[132:133], v[98:99]                // 00000000491C: D3B14062 1802C584
	v_pk_mul_f32 v[100:101], v[134:135], v[100:101]            // 000000004924: D3B14064 1802C986
	v_pk_mul_f32 v[102:103], v[134:135], v[102:103]            // 00000000492C: D3B14066 1802CD86
	v_pk_mul_f32 v[104:105], v[134:135], v[104:105]            // 000000004934: D3B14068 1802D186
	v_pk_mul_f32 v[106:107], v[134:135], v[106:107]            // 00000000493C: D3B1406A 1802D586
	s_waitcnt lgkmcnt(0)                                       // 000000004944: BF8CC07F
	v_max3_f32 v146, v148, v150, v146                          // 000000004948: D1D30092 064B2D94
	v_max3_f32 v147, v149, v151, v147                          // 000000004950: D1D30093 064F2F95
	v_max3_f32 v146, v152, v154, v146                          // 000000004958: D1D30092 064B3598
	v_max3_f32 v147, v153, v155, v147                          // 000000004960: D1D30093 064F3799
	v_max3_f32 v146, v156, v158, v146                          // 000000004968: D1D30092 064B3D9C
	v_max3_f32 v147, v157, v159, v147                          // 000000004970: D1D30093 064F3F9D
	v_max3_f32 v146, v160, v162, v146                          // 000000004978: D1D30092 064B45A0
	v_max3_f32 v147, v161, v163, v147                          // 000000004980: D1D30093 064F47A1
	v_max3_f32 v146, v164, v166, v146                          // 000000004988: D1D30092 064B4DA4
	v_max3_f32 v147, v165, v167, v147                          // 000000004990: D1D30093 064F4FA5
	v_max3_f32 v146, v168, v170, v146                          // 000000004998: D1D30092 064B55A8
	v_max3_f32 v147, v169, v171, v147                          // 0000000049A0: D1D30093 064F57A9
	v_max3_f32 v146, v172, v174, v146                          // 0000000049A8: D1D30092 064B5DAC
	v_max3_f32 v147, v173, v175, v147                          // 0000000049B0: D1D30093 064F5FAD
	v_max3_f32 v146, v176, v178, v146                          // 0000000049B8: D1D30092 064B65B0
	v_max3_f32 v147, v177, v179, v147                          // 0000000049C0: D1D30093 064F67B1
	v_max_f32_e32 v138, v146, v136                             // 0000000049C8: 17151192
	v_mul_f32_e64 v180, -s51, v138                             // 0000000049CC: D10500B4 20031433
	v_mov_b32_e32 v181, v180                                   // 0000000049D4: 7F6A03B4
	v_pk_fma_f32 v[28:29], v[28:29], s[68:69], v[180:181]      // 0000000049D8: D3B0401C 1ED0891C
	v_pk_fma_f32 v[30:31], v[30:31], s[68:69], v[180:181]      // 0000000049E0: D3B0401E 1ED0891E
	v_exp_f32_e32 v28, v28                                     // 0000000049E8: 7E38411C
	v_exp_f32_e32 v29, v29                                     // 0000000049EC: 7E3A411D
	v_exp_f32_e32 v30, v30                                     // 0000000049F0: 7E3C411E
	v_exp_f32_e32 v31, v31                                     // 0000000049F4: 7E3E411F
	v_pk_fma_f32 v[32:33], v[32:33], s[68:69], v[180:181]      // 0000000049F8: D3B04020 1ED08920
	v_pk_fma_f32 v[34:35], v[34:35], s[68:69], v[180:181]      // 000000004A00: D3B04022 1ED08922
	v_exp_f32_e32 v32, v32                                     // 000000004A08: 7E404120
	v_exp_f32_e32 v33, v33                                     // 000000004A0C: 7E424121
	v_exp_f32_e32 v34, v34                                     // 000000004A10: 7E444122
	v_exp_f32_e32 v35, v35                                     // 000000004A14: 7E464123
	v_pk_fma_f32 v[36:37], v[36:37], s[68:69], v[180:181]      // 000000004A18: D3B04024 1ED08924
	v_pk_fma_f32 v[38:39], v[38:39], s[68:69], v[180:181]      // 000000004A20: D3B04026 1ED08926
	v_exp_f32_e32 v36, v36                                     // 000000004A28: 7E484124
	v_exp_f32_e32 v37, v37                                     // 000000004A2C: 7E4A4125
	v_exp_f32_e32 v38, v38                                     // 000000004A30: 7E4C4126
	v_exp_f32_e32 v39, v39                                     // 000000004A34: 7E4E4127
	v_pk_fma_f32 v[40:41], v[40:41], s[68:69], v[180:181]      // 000000004A38: D3B04028 1ED08928
	v_pk_fma_f32 v[42:43], v[42:43], s[68:69], v[180:181]      // 000000004A40: D3B0402A 1ED0892A
	v_exp_f32_e32 v40, v40                                     // 000000004A48: 7E504128
	v_exp_f32_e32 v41, v41                                     // 000000004A4C: 7E524129
	v_exp_f32_e32 v42, v42                                     // 000000004A50: 7E54412A
	v_exp_f32_e32 v43, v43                                     // 000000004A54: 7E56412B
	v_max_f32_e32 v139, v147, v137                             // 000000004A58: 17171393
	v_mul_f32_e64 v180, -s51, v139                             // 000000004A5C: D10500B4 20031633
	v_mov_b32_e32 v181, v180                                   // 000000004A64: 7F6A03B4
	v_pk_fma_f32 v[44:45], v[44:45], s[68:69], v[180:181]      // 000000004A68: D3B0402C 1ED0892C
	v_pk_fma_f32 v[46:47], v[46:47], s[68:69], v[180:181]      // 000000004A70: D3B0402E 1ED0892E
	v_exp_f32_e32 v44, v44                                     // 000000004A78: 7E58412C
	v_exp_f32_e32 v45, v45                                     // 000000004A7C: 7E5A412D
	v_exp_f32_e32 v46, v46                                     // 000000004A80: 7E5C412E
	v_exp_f32_e32 v47, v47                                     // 000000004A84: 7E5E412F
	v_pk_fma_f32 v[48:49], v[48:49], s[68:69], v[180:181]      // 000000004A88: D3B04030 1ED08930
	v_pk_fma_f32 v[50:51], v[50:51], s[68:69], v[180:181]      // 000000004A90: D3B04032 1ED08932
	v_exp_f32_e32 v48, v48                                     // 000000004A98: 7E604130
	v_exp_f32_e32 v49, v49                                     // 000000004A9C: 7E624131
	v_exp_f32_e32 v50, v50                                     // 000000004AA0: 7E644132
	v_exp_f32_e32 v51, v51                                     // 000000004AA4: 7E664133
	v_pk_fma_f32 v[52:53], v[52:53], s[68:69], v[180:181]      // 000000004AA8: D3B04034 1ED08934
	v_pk_fma_f32 v[54:55], v[54:55], s[68:69], v[180:181]      // 000000004AB0: D3B04036 1ED08936
	v_exp_f32_e32 v52, v52                                     // 000000004AB8: 7E684134
	v_exp_f32_e32 v53, v53                                     // 000000004ABC: 7E6A4135
	v_exp_f32_e32 v54, v54                                     // 000000004AC0: 7E6C4136
	v_exp_f32_e32 v55, v55                                     // 000000004AC4: 7E6E4137
	v_pk_fma_f32 v[56:57], v[56:57], s[68:69], v[180:181]      // 000000004AC8: D3B04038 1ED08938
	v_pk_fma_f32 v[58:59], v[58:59], s[68:69], v[180:181]      // 000000004AD0: D3B0403A 1ED0893A
	v_exp_f32_e32 v56, v56                                     // 000000004AD8: 7E704138
	v_exp_f32_e32 v57, v57                                     // 000000004ADC: 7E724139
	v_exp_f32_e32 v58, v58                                     // 000000004AE0: 7E74413A
	v_exp_f32_e32 v59, v59                                     // 000000004AE4: 7E76413B
	v_mul_f32_dpp v60, v130, v28 row_newbcast:0 row_mask:0xf bank_mask:0xf// 000000004AE8: 0A7838FA FF015082
	v_mul_f32_dpp v61, v130, v29 row_newbcast:1 row_mask:0xf bank_mask:0xf// 000000004AF0: 0A7A3AFA FF015182
	v_mul_f32_dpp v62, v130, v30 row_newbcast:2 row_mask:0xf bank_mask:0xf// 000000004AF8: 0A7C3CFA FF015282
	v_mul_f32_dpp v63, v130, v31 row_newbcast:3 row_mask:0xf bank_mask:0xf// 000000004B00: 0A7E3EFA FF015382
	v_mul_f32_dpp v64, v130, v32 row_newbcast:4 row_mask:0xf bank_mask:0xf// 000000004B08: 0A8040FA FF015482
	v_mul_f32_dpp v65, v130, v33 row_newbcast:5 row_mask:0xf bank_mask:0xf// 000000004B10: 0A8242FA FF015582
	v_mul_f32_dpp v66, v130, v34 row_newbcast:6 row_mask:0xf bank_mask:0xf// 000000004B18: 0A8444FA FF015682
	v_mul_f32_dpp v67, v130, v35 row_newbcast:7 row_mask:0xf bank_mask:0xf// 000000004B20: 0A8646FA FF015782
	v_mul_f32_dpp v68, v130, v36 row_newbcast:8 row_mask:0xf bank_mask:0xf// 000000004B28: 0A8848FA FF015882
	v_mul_f32_dpp v69, v130, v37 row_newbcast:9 row_mask:0xf bank_mask:0xf// 000000004B30: 0A8A4AFA FF015982
	v_mul_f32_dpp v70, v130, v38 row_newbcast:10 row_mask:0xf bank_mask:0xf// 000000004B38: 0A8C4CFA FF015A82
	v_mul_f32_dpp v71, v130, v39 row_newbcast:11 row_mask:0xf bank_mask:0xf// 000000004B40: 0A8E4EFA FF015B82
	v_mul_f32_dpp v72, v130, v40 row_newbcast:12 row_mask:0xf bank_mask:0xf// 000000004B48: 0A9050FA FF015C82
	v_mul_f32_dpp v73, v130, v41 row_newbcast:13 row_mask:0xf bank_mask:0xf// 000000004B50: 0A9252FA FF015D82
	v_mul_f32_dpp v74, v130, v42 row_newbcast:14 row_mask:0xf bank_mask:0xf// 000000004B58: 0A9454FA FF015E82
	v_mul_f32_dpp v75, v130, v43 row_newbcast:15 row_mask:0xf bank_mask:0xf// 000000004B60: 0A9656FA FF015F82
	v_mul_f32_dpp v76, v130, v44 row_newbcast:0 row_mask:0xf bank_mask:0xf// 000000004B68: 0A9858FA FF015082
	v_mul_f32_dpp v77, v130, v45 row_newbcast:1 row_mask:0xf bank_mask:0xf// 000000004B70: 0A9A5AFA FF015182
	v_mul_f32_dpp v78, v130, v46 row_newbcast:2 row_mask:0xf bank_mask:0xf// 000000004B78: 0A9C5CFA FF015282
	v_mul_f32_dpp v79, v130, v47 row_newbcast:3 row_mask:0xf bank_mask:0xf// 000000004B80: 0A9E5EFA FF015382
	v_mul_f32_dpp v80, v130, v48 row_newbcast:4 row_mask:0xf bank_mask:0xf// 000000004B88: 0AA060FA FF015482
	v_mul_f32_dpp v81, v130, v49 row_newbcast:5 row_mask:0xf bank_mask:0xf// 000000004B90: 0AA262FA FF015582
	v_mul_f32_dpp v82, v130, v50 row_newbcast:6 row_mask:0xf bank_mask:0xf// 000000004B98: 0AA464FA FF015682
	v_mul_f32_dpp v83, v130, v51 row_newbcast:7 row_mask:0xf bank_mask:0xf// 000000004BA0: 0AA666FA FF015782
	v_mul_f32_dpp v84, v130, v52 row_newbcast:8 row_mask:0xf bank_mask:0xf// 000000004BA8: 0AA868FA FF015882
	v_mul_f32_dpp v85, v130, v53 row_newbcast:9 row_mask:0xf bank_mask:0xf// 000000004BB0: 0AAA6AFA FF015982
	v_mul_f32_dpp v86, v130, v54 row_newbcast:10 row_mask:0xf bank_mask:0xf// 000000004BB8: 0AAC6CFA FF015A82
	v_mul_f32_dpp v87, v130, v55 row_newbcast:11 row_mask:0xf bank_mask:0xf// 000000004BC0: 0AAE6EFA FF015B82
	v_mul_f32_dpp v88, v130, v56 row_newbcast:12 row_mask:0xf bank_mask:0xf// 000000004BC8: 0AB070FA FF015C82
	v_mul_f32_dpp v89, v130, v57 row_newbcast:13 row_mask:0xf bank_mask:0xf// 000000004BD0: 0AB272FA FF015D82
	v_mul_f32_dpp v90, v130, v58 row_newbcast:14 row_mask:0xf bank_mask:0xf// 000000004BD8: 0AB474FA FF015E82
	v_mul_f32_dpp v91, v130, v59 row_newbcast:15 row_mask:0xf bank_mask:0xf// 000000004BE0: 0AB676FA FF015F82
	v_mov_b32_e32 v146, 0x358637bd                             // 000000004BE8: 7F2402FF 358637BD
	v_max3_f32 v146, |v60|, |v61|, v146                        // 000000004BF0: D1D30392 064A7B3C
	v_max3_f32 v146, |v62|, |v63|, v146                        // 000000004BF8: D1D30392 064A7F3E
	v_max3_f32 v146, |v64|, |v65|, v146                        // 000000004C00: D1D30392 064A8340
	v_max3_f32 v146, |v66|, |v67|, v146                        // 000000004C08: D1D30392 064A8742
	v_max3_f32 v146, |v68|, |v69|, v146                        // 000000004C10: D1D30392 064A8B44
	v_max3_f32 v146, |v70|, |v71|, v146                        // 000000004C18: D1D30392 064A8F46
	v_max3_f32 v146, |v72|, |v73|, v146                        // 000000004C20: D1D30392 064A9348
	v_max3_f32 v146, |v74|, |v75|, v146                        // 000000004C28: D1D30392 064A974A
	v_mov_b32_e32 v147, 0x358637bd                             // 000000004C30: 7F2602FF 358637BD
	v_max3_f32 v147, |v76|, |v77|, v147                        // 000000004C38: D1D30393 064E9B4C
	v_max3_f32 v147, |v78|, |v79|, v147                        // 000000004C40: D1D30393 064E9F4E
	v_max3_f32 v147, |v80|, |v81|, v147                        // 000000004C48: D1D30393 064EA350
	v_max3_f32 v147, |v82|, |v83|, v147                        // 000000004C50: D1D30393 064EA752
	v_max3_f32 v147, |v84|, |v85|, v147                        // 000000004C58: D1D30393 064EAB54
	v_max3_f32 v147, |v86|, |v87|, v147                        // 000000004C60: D1D30393 064EAF56
	v_max3_f32 v147, |v88|, |v89|, v147                        // 000000004C68: D1D30393 064EB358
	v_max3_f32 v147, |v90|, |v91|, v147                        // 000000004C70: D1D30393 064EB75A
	ds_write_b64 v210, v[146:147] offset:2304                  // 000000004C78: D89A0900 000092D2
	buffer_load_dword v129, v202, s[28:31], 0 offen            // 000000004C80: E0501000 800781CA
	v_sub_f32_e32 v140, v136, v138                             // 000000004C88: 05191588
	v_cmp_eq_u32_e64 s[92:93], v191, v136                      // 000000004C8C: D0CA005C 000311BF
	s_nop 0                                                    // 000000004C94: BF800000
	v_cndmask_b32_e64 v140, v140, 0, s[92:93]                  // 000000004C98: D100008C 0171018C
	v_mov_b32_e32 v136, v138                                   // 000000004CA0: 7F10038A
	v_mul_f32_e32 v140, s51, v140                              // 000000004CA4: 0B191833
	v_exp_f32_e32 v140, v140                                   // 000000004CA8: 7F18418C
	v_sub_f32_e32 v142, v137, v139                             // 000000004CAC: 051D1789
	v_cmp_eq_u32_e64 s[92:93], v191, v137                      // 000000004CB0: D0CA005C 000313BF
	s_nop 0                                                    // 000000004CB8: BF800000
	v_cndmask_b32_e64 v142, v142, 0, s[92:93]                  // 000000004CBC: D100008E 0171018E
	v_mov_b32_e32 v137, v139                                   // 000000004CC4: 7F12038B
	v_mul_f32_e32 v142, s51, v142                              // 000000004CC8: 0B1D1C33
	v_exp_f32_e32 v142, v142                                   // 000000004CCC: 7F1C418E
	v_mov_b32_e32 v141, v140                                   // 000000004CD0: 7F1A038C
	v_mov_b32_e32 v143, v142                                   // 000000004CD4: 7F1E038E
	buffer_load_dword v131, v203, s[32:35], 0 offen            // 000000004CD8: E0501000 800883CB
	s_waitcnt lgkmcnt(0)                                       // 000000004CE0: BF8CC07F
	s_barrier                                                  // 000000004CE4: BF8A0000
	ds_read_b64 v[148:149], v211 offset:2304                   // 000000004CE8: D8EC0900 940000D3
	ds_read_b64 v[150:151], v211 offset:2432                   // 000000004CF0: D8EC0980 960000D3
	ds_read_b64 v[152:153], v211 offset:2560                   // 000000004CF8: D8EC0A00 980000D3
	ds_read_b64 v[154:155], v211 offset:2688                   // 000000004D00: D8EC0A80 9A0000D3
	ds_read_b64 v[156:157], v211 offset:2816                   // 000000004D08: D8EC0B00 9C0000D3
	ds_read_b64 v[158:159], v211 offset:2944                   // 000000004D10: D8EC0B80 9E0000D3
	ds_read_b64 v[160:161], v211 offset:3072                   // 000000004D18: D8EC0C00 A00000D3
	ds_read_b64 v[162:163], v211 offset:3200                   // 000000004D20: D8EC0C80 A20000D3
	ds_read_b64 v[164:165], v211 offset:3328                   // 000000004D28: D8EC0D00 A40000D3
	ds_read_b64 v[166:167], v211 offset:3456                   // 000000004D30: D8EC0D80 A60000D3
	ds_read_b64 v[168:169], v211 offset:3584                   // 000000004D38: D8EC0E00 A80000D3
	ds_read_b64 v[170:171], v211 offset:3712                   // 000000004D40: D8EC0E80 AA0000D3
	ds_read_b64 v[172:173], v211 offset:3840                   // 000000004D48: D8EC0F00 AC0000D3
	ds_read_b64 v[174:175], v211 offset:3968                   // 000000004D50: D8EC0F80 AE0000D3
	ds_read_b64 v[176:177], v211 offset:4096                   // 000000004D58: D8EC1000 B00000D3
	ds_read_b64 v[178:179], v211 offset:4224                   // 000000004D60: D8EC1080 B20000D3
	v_mul_f32_e32 v144, v140, v144                             // 000000004D68: 0B21218C
	v_add_f32_e32 v144, v28, v144                              // 000000004D6C: 0321211C
	v_add_f32_e32 v144, v29, v144                              // 000000004D70: 0321211D
	v_add_f32_e32 v144, v30, v144                              // 000000004D74: 0321211E
	v_add_f32_e32 v144, v31, v144                              // 000000004D78: 0321211F
	v_add_f32_e32 v144, v32, v144                              // 000000004D7C: 03212120
	v_add_f32_e32 v144, v33, v144                              // 000000004D80: 03212121
	v_add_f32_e32 v144, v34, v144                              // 000000004D84: 03212122
	v_add_f32_e32 v144, v35, v144                              // 000000004D88: 03212123
	v_add_f32_e32 v144, v36, v144                              // 000000004D8C: 03212124
	v_add_f32_e32 v144, v37, v144                              // 000000004D90: 03212125
	v_add_f32_e32 v144, v38, v144                              // 000000004D94: 03212126
	v_add_f32_e32 v144, v39, v144                              // 000000004D98: 03212127
	v_add_f32_e32 v144, v40, v144                              // 000000004D9C: 03212128
	v_add_f32_e32 v144, v41, v144                              // 000000004DA0: 03212129
	v_add_f32_e32 v144, v42, v144                              // 000000004DA4: 0321212A
	v_add_f32_e32 v144, v43, v144                              // 000000004DA8: 0321212B
	v_mul_f32_e32 v145, v142, v145                             // 000000004DAC: 0B23238E
	v_add_f32_e32 v145, v44, v145                              // 000000004DB0: 0323232C
	v_add_f32_e32 v145, v45, v145                              // 000000004DB4: 0323232D
	v_add_f32_e32 v145, v46, v145                              // 000000004DB8: 0323232E
	v_add_f32_e32 v145, v47, v145                              // 000000004DBC: 0323232F
	v_add_f32_e32 v145, v48, v145                              // 000000004DC0: 03232330
	v_add_f32_e32 v145, v49, v145                              // 000000004DC4: 03232331
	v_add_f32_e32 v145, v50, v145                              // 000000004DC8: 03232332
	v_add_f32_e32 v145, v51, v145                              // 000000004DCC: 03232333
	v_add_f32_e32 v145, v52, v145                              // 000000004DD0: 03232334
	v_add_f32_e32 v145, v53, v145                              // 000000004DD4: 03232335
	v_add_f32_e32 v145, v54, v145                              // 000000004DD8: 03232336
	v_add_f32_e32 v145, v55, v145                              // 000000004DDC: 03232337
	v_add_f32_e32 v145, v56, v145                              // 000000004DE0: 03232338
	v_add_f32_e32 v145, v57, v145                              // 000000004DE4: 03232339
	v_add_f32_e32 v145, v58, v145                              // 000000004DE8: 0323233A
	v_add_f32_e32 v145, v59, v145                              // 000000004DEC: 0323233B
	s_waitcnt lgkmcnt(0)                                       // 000000004DF0: BF8CC07F
	v_max3_f32 v146, v148, v150, v146                          // 000000004DF4: D1D30092 064B2D94
	v_max3_f32 v147, v149, v151, v147                          // 000000004DFC: D1D30093 064F2F95
	v_max3_f32 v146, v152, v154, v146                          // 000000004E04: D1D30092 064B3598
	v_max3_f32 v147, v153, v155, v147                          // 000000004E0C: D1D30093 064F3799
	v_max3_f32 v146, v156, v158, v146                          // 000000004E14: D1D30092 064B3D9C
	v_max3_f32 v147, v157, v159, v147                          // 000000004E1C: D1D30093 064F3F9D
	v_max3_f32 v146, v160, v162, v146                          // 000000004E24: D1D30092 064B45A0
	v_max3_f32 v147, v161, v163, v147                          // 000000004E2C: D1D30093 064F47A1
	v_max3_f32 v146, v164, v166, v146                          // 000000004E34: D1D30092 064B4DA4
	v_max3_f32 v147, v165, v167, v147                          // 000000004E3C: D1D30093 064F4FA5
	v_max3_f32 v146, v168, v170, v146                          // 000000004E44: D1D30092 064B55A8
	v_max3_f32 v147, v169, v171, v147                          // 000000004E4C: D1D30093 064F57A9
	v_max3_f32 v146, v172, v174, v146                          // 000000004E54: D1D30092 064B5DAC
	v_max3_f32 v147, v173, v175, v147                          // 000000004E5C: D1D30093 064F5FAD
	v_max3_f32 v146, v176, v178, v146                          // 000000004E64: D1D30092 064B65B0
	v_max3_f32 v147, v177, v179, v147                          // 000000004E6C: D1D30093 064F67B1
	v_rcp_f32_e32 v146, v146                                   // 000000004E74: 7F244592
	v_rcp_f32_e32 v147, v147                                   // 000000004E78: 7F264593
	v_mul_f32_e32 v146, 0x43700000, v146                       // 000000004E7C: 0B2524FF 43700000
	v_mul_f32_e32 v147, 0x43700000, v147                       // 000000004E84: 0B2726FF 43700000
	v_mul_f32_e32 v28, v146, v60                               // 000000004E8C: 0A387992
	v_mul_f32_e32 v29, v146, v61                               // 000000004E90: 0A3A7B92
	v_mul_f32_e32 v30, v146, v62                               // 000000004E94: 0A3C7D92
	v_mul_f32_e32 v31, v146, v63                               // 000000004E98: 0A3E7F92
	v_mul_f32_e32 v32, v146, v64                               // 000000004E9C: 0A408192
	v_mul_f32_e32 v33, v146, v65                               // 000000004EA0: 0A428392
	v_mul_f32_e32 v34, v146, v66                               // 000000004EA4: 0A448592
	v_mul_f32_e32 v35, v146, v67                               // 000000004EA8: 0A468792
	v_mul_f32_e32 v36, v146, v68                               // 000000004EAC: 0A488992
	v_mul_f32_e32 v37, v146, v69                               // 000000004EB0: 0A4A8B92
	v_mul_f32_e32 v38, v146, v70                               // 000000004EB4: 0A4C8D92
	v_mul_f32_e32 v39, v146, v71                               // 000000004EB8: 0A4E8F92
	v_mul_f32_e32 v40, v146, v72                               // 000000004EBC: 0A509192
	v_mul_f32_e32 v41, v146, v73                               // 000000004EC0: 0A529392
	v_mul_f32_e32 v42, v146, v74                               // 000000004EC4: 0A549592
	v_mul_f32_e32 v43, v146, v75                               // 000000004EC8: 0A569792
	v_mul_f32_e32 v44, v147, v76                               // 000000004ECC: 0A589993
	v_mul_f32_e32 v45, v147, v77                               // 000000004ED0: 0A5A9B93
	v_mul_f32_e32 v46, v147, v78                               // 000000004ED4: 0A5C9D93
	v_mul_f32_e32 v47, v147, v79                               // 000000004ED8: 0A5E9F93
	v_mul_f32_e32 v48, v147, v80                               // 000000004EDC: 0A60A193
	v_mul_f32_e32 v49, v147, v81                               // 000000004EE0: 0A62A393
	v_mul_f32_e32 v50, v147, v82                               // 000000004EE4: 0A64A593
	v_mul_f32_e32 v51, v147, v83                               // 000000004EE8: 0A66A793
	v_mul_f32_e32 v52, v147, v84                               // 000000004EEC: 0A68A993
	v_mul_f32_e32 v53, v147, v85                               // 000000004EF0: 0A6AAB93
	v_mul_f32_e32 v54, v147, v86                               // 000000004EF4: 0A6CAD93
	v_mul_f32_e32 v55, v147, v87                               // 000000004EF8: 0A6EAF93
	v_mul_f32_e32 v56, v147, v88                               // 000000004EFC: 0A70B193
	v_mul_f32_e32 v57, v147, v89                               // 000000004F00: 0A72B393
	v_mul_f32_e32 v58, v147, v90                               // 000000004F04: 0A74B593
	v_mul_f32_e32 v59, v147, v91                               // 000000004F08: 0A76B793
	v_cvt_pk_fp8_f32 v28, v28, v29                             // 000000004F0C: D2A2001C 00023B1C
	v_cvt_pk_fp8_f32 v28, v30, v31 op_sel:[0,0,1]              // 000000004F14: D2A2401C 00023F1E
	v_cvt_pk_fp8_f32 v29, v32, v33                             // 000000004F1C: D2A2001D 00024320
	v_cvt_pk_fp8_f32 v29, v34, v35 op_sel:[0,0,1]              // 000000004F24: D2A2401D 00024722
	v_cvt_pk_fp8_f32 v30, v36, v37                             // 000000004F2C: D2A2001E 00024B24
	v_cvt_pk_fp8_f32 v30, v38, v39 op_sel:[0,0,1]              // 000000004F34: D2A2401E 00024F26
	v_cvt_pk_fp8_f32 v31, v40, v41                             // 000000004F3C: D2A2001F 00025328
	v_cvt_pk_fp8_f32 v31, v42, v43 op_sel:[0,0,1]              // 000000004F44: D2A2401F 0002572A
	v_cvt_pk_fp8_f32 v32, v44, v45                             // 000000004F4C: D2A20020 00025B2C
	v_cvt_pk_fp8_f32 v32, v46, v47 op_sel:[0,0,1]              // 000000004F54: D2A24020 00025F2E
	v_cvt_pk_fp8_f32 v33, v48, v49                             // 000000004F5C: D2A20021 00026330
	v_cvt_pk_fp8_f32 v33, v50, v51 op_sel:[0,0,1]              // 000000004F64: D2A24021 00026732
	v_cvt_pk_fp8_f32 v34, v52, v53                             // 000000004F6C: D2A20022 00026B34
	v_cvt_pk_fp8_f32 v34, v54, v55 op_sel:[0,0,1]              // 000000004F74: D2A24022 00026F36
	v_cvt_pk_fp8_f32 v35, v56, v57                             // 000000004F7C: D2A20023 00027338
	v_cvt_pk_fp8_f32 v35, v58, v59 op_sel:[0,0,1]              // 000000004F84: D2A24023 0002773A
	ds_write_b32 v212, v28 offset:4608                         // 000000004F8C: D81A1200 00001CD4
	ds_write_b32 v212, v29 offset:5632                         // 000000004F94: D81A1600 00001DD4
	ds_write_b32 v212, v30 offset:6656                         // 000000004F9C: D81A1A00 00001ED4
	ds_write_b32 v212, v31 offset:7680                         // 000000004FA4: D81A1E00 00001FD4
	ds_write_b32 v212, v32 offset:8704                         // 000000004FAC: D81A2200 000020D4
	ds_write_b32 v212, v33 offset:9728                         // 000000004FB4: D81A2600 000021D4
	ds_write_b32 v212, v34 offset:10752                        // 000000004FBC: D81A2A00 000022D4
	ds_write_b32 v212, v35 offset:11776                        // 000000004FC4: D81A2E00 000023D4
	v_rcp_f32_e32 v132, v146                                   // 000000004FCC: 7F084592
	v_rcp_f32_e32 v134, v147                                   // 000000004FD0: 7F0C4593
	v_mov_b32_e32 v133, v132                                   // 000000004FD4: 7F0A0384
	v_mov_b32_e32 v135, v134                                   // 000000004FD8: 7F0E0386
	v_pk_add_f32 v[108:109], v[108:109], v[92:93]              // 000000004FDC: D3B2406C 1802B96C
	v_pk_add_f32 v[110:111], v[110:111], v[94:95]              // 000000004FE4: D3B2406E 1802BD6E
	v_pk_add_f32 v[112:113], v[112:113], v[96:97]              // 000000004FEC: D3B24070 1802C170
	v_pk_add_f32 v[114:115], v[114:115], v[98:99]              // 000000004FF4: D3B24072 1802C572
	v_pk_add_f32 v[116:117], v[116:117], v[100:101]            // 000000004FFC: D3B24074 1802C974
	v_pk_add_f32 v[118:119], v[118:119], v[102:103]            // 000000005004: D3B24076 1802CD76
	v_pk_add_f32 v[120:121], v[120:121], v[104:105]            // 00000000500C: D3B24078 1802D178
	v_pk_add_f32 v[122:123], v[122:123], v[106:107]            // 000000005014: D3B2407A 1802D57A
	s_waitcnt lgkmcnt(0)                                       // 00000000501C: BF8CC07F
	s_barrier                                                  // 000000005020: BF8A0000
	ds_read_b128 v[28:31], v213 offset:4608                    // 000000005024: D9FE1200 1C0000D5
	ds_read_b128 v[32:35], v213 offset:5632                    // 00000000502C: D9FE1600 200000D5
	ds_read_b128 v[36:39], v213 offset:6656                    // 000000005034: D9FE1A00 240000D5
	ds_read_b128 v[40:43], v213 offset:7680                    // 00000000503C: D9FE1E00 280000D5
	ds_read_b128 v[44:47], v213 offset:8704                    // 000000005044: D9FE2200 2C0000D5
	ds_read_b128 v[48:51], v213 offset:9728                    // 00000000504C: D9FE2600 300000D5
	ds_read_b128 v[52:55], v213 offset:10752                   // 000000005054: D9FE2A00 340000D5
	ds_read_b128 v[56:59], v213 offset:11776                   // 00000000505C: D9FE2E00 380000D5
	s_waitcnt vmcnt(10)                                        // 000000005064: BF8C0F7A
	s_waitcnt lgkmcnt(7)                                       // 000000005068: BF8CC77F
	v_mfma_f32_16x16x32_fp8_fp8 v[92:95], a[64:65], v[28:29], 0// 00000000506C: D3F3005C 0A023940
	v_mfma_f32_16x16x32_fp8_fp8 v[96:99], a[80:81], v[28:29], 0// 000000005074: D3F30060 0A023950
	v_mfma_f32_16x16x32_fp8_fp8 v[92:95], a[66:67], v[30:31], v[92:95]// 00000000507C: D3F3005C 0D723D42
	buffer_load_dwordx4 a[96:99], v198, s[16:19], 0 offen      // 000000005084: E05C1000 808460C6
	v_mfma_f32_16x16x32_fp8_fp8 v[96:99], a[82:83], v[30:31], v[96:99]// 00000000508C: D3F30060 0D823D52
	s_waitcnt lgkmcnt(6)                                       // 000000005094: BF8CC67F
	v_mfma_f32_16x16x32_fp8_fp8 v[92:95], a[68:69], v[32:33], v[92:95]// 000000005098: D3F3005C 0D724144
	v_mfma_f32_16x16x32_fp8_fp8 v[96:99], a[84:85], v[32:33], v[96:99]// 0000000050A0: D3F30060 0D824154
	v_mfma_f32_16x16x32_fp8_fp8 v[92:95], a[70:71], v[34:35], v[92:95]// 0000000050A8: D3F3005C 0D724546
	buffer_load_dwordx4 a[100:103], v199, s[16:19], 0 offen    // 0000000050B0: E05C1000 808464C7
	v_mfma_f32_16x16x32_fp8_fp8 v[96:99], a[86:87], v[34:35], v[96:99]// 0000000050B8: D3F30060 0D824556
	s_waitcnt lgkmcnt(5)                                       // 0000000050C0: BF8CC57F
	v_mfma_f32_16x16x32_fp8_fp8 v[92:95], a[72:73], v[36:37], v[92:95]// 0000000050C4: D3F3005C 0D724948
	v_mfma_f32_16x16x32_fp8_fp8 v[96:99], a[88:89], v[36:37], v[96:99]// 0000000050CC: D3F30060 0D824958
	v_mfma_f32_16x16x32_fp8_fp8 v[92:95], a[74:75], v[38:39], v[92:95]// 0000000050D4: D3F3005C 0D724D4A
	buffer_load_dwordx4 a[104:107], v200, s[16:19], 0 offen    // 0000000050DC: E05C1000 808468C8
	v_mfma_f32_16x16x32_fp8_fp8 v[96:99], a[90:91], v[38:39], v[96:99]// 0000000050E4: D3F30060 0D824D5A
	s_waitcnt lgkmcnt(4)                                       // 0000000050EC: BF8CC47F
	v_mfma_f32_16x16x32_fp8_fp8 v[92:95], a[76:77], v[40:41], v[92:95]// 0000000050F0: D3F3005C 0D72514C
	v_mfma_f32_16x16x32_fp8_fp8 v[96:99], a[92:93], v[40:41], v[96:99]// 0000000050F8: D3F30060 0D82515C
	v_mfma_f32_16x16x32_fp8_fp8 v[92:95], a[78:79], v[42:43], v[92:95]// 000000005100: D3F3005C 0D72554E
	buffer_load_dwordx4 a[108:111], v201, s[16:19], 0 offen    // 000000005108: E05C1000 80846CC9
	v_mfma_f32_16x16x32_fp8_fp8 v[96:99], a[94:95], v[42:43], v[96:99]// 000000005110: D3F30060 0D82555E
	s_waitcnt lgkmcnt(3)                                       // 000000005118: BF8CC37F
	v_mfma_f32_16x16x32_fp8_fp8 v[100:103], a[64:65], v[44:45], 0// 00000000511C: D3F30064 0A025940
	v_mfma_f32_16x16x32_fp8_fp8 v[104:107], a[80:81], v[44:45], 0// 000000005124: D3F30068 0A025950
	v_mfma_f32_16x16x32_fp8_fp8 v[100:103], a[66:67], v[46:47], v[100:103]// 00000000512C: D3F30064 0D925D42
	buffer_load_dwordx4 a[112:115], v198, s[16:19], 0 offen offset:1024// 000000005134: E05C1400 808470C6
	v_mfma_f32_16x16x32_fp8_fp8 v[104:107], a[82:83], v[46:47], v[104:107]// 00000000513C: D3F30068 0DA25D52
	s_waitcnt lgkmcnt(2)                                       // 000000005144: BF8CC27F
	v_mfma_f32_16x16x32_fp8_fp8 v[100:103], a[68:69], v[48:49], v[100:103]// 000000005148: D3F30064 0D926144
	v_mfma_f32_16x16x32_fp8_fp8 v[104:107], a[84:85], v[48:49], v[104:107]// 000000005150: D3F30068 0DA26154
	v_mfma_f32_16x16x32_fp8_fp8 v[100:103], a[70:71], v[50:51], v[100:103]// 000000005158: D3F30064 0D926546
	buffer_load_dwordx4 a[116:119], v199, s[16:19], 0 offen offset:1024// 000000005160: E05C1400 808474C7
	v_mfma_f32_16x16x32_fp8_fp8 v[104:107], a[86:87], v[50:51], v[104:107]// 000000005168: D3F30068 0DA26556
	s_waitcnt lgkmcnt(1)                                       // 000000005170: BF8CC17F
	v_mfma_f32_16x16x32_fp8_fp8 v[100:103], a[72:73], v[52:53], v[100:103]// 000000005174: D3F30064 0D926948
	v_mfma_f32_16x16x32_fp8_fp8 v[104:107], a[88:89], v[52:53], v[104:107]// 00000000517C: D3F30068 0DA26958
	v_mfma_f32_16x16x32_fp8_fp8 v[100:103], a[74:75], v[54:55], v[100:103]// 000000005184: D3F30064 0D926D4A
	buffer_load_dwordx4 a[120:123], v200, s[16:19], 0 offen offset:1024// 00000000518C: E05C1400 808478C8
	v_mfma_f32_16x16x32_fp8_fp8 v[104:107], a[90:91], v[54:55], v[104:107]// 000000005194: D3F30068 0DA26D5A
	s_waitcnt lgkmcnt(0)                                       // 00000000519C: BF8CC07F
	v_mfma_f32_16x16x32_fp8_fp8 v[100:103], a[76:77], v[56:57], v[100:103]// 0000000051A0: D3F30064 0D92714C
	v_mfma_f32_16x16x32_fp8_fp8 v[104:107], a[92:93], v[56:57], v[104:107]// 0000000051A8: D3F30068 0DA2715C
	v_mfma_f32_16x16x32_fp8_fp8 v[100:103], a[78:79], v[58:59], v[100:103]// 0000000051B0: D3F30064 0D92754E
	buffer_load_dwordx4 a[124:127], v201, s[16:19], 0 offen offset:1024// 0000000051B8: E05C1400 80847CC9
	v_mfma_f32_16x16x32_fp8_fp8 v[104:107], a[94:95], v[58:59], v[104:107]// 0000000051C0: D3F30068 0DA2755E
	s_addk_i32 s49, 0x100                                      // 0000000051C8: B7310100
	s_cmp_lt_i32 s49, s50                                      // 0000000051CC: BF043231
	s_cbranch_scc0 label_2915                                  // 0000000051D0: BF841CE0
	s_waitcnt vmcnt(10)                                        // 0000000051D4: BF8C0F7A
	v_mfma_f32_16x16x32_fp8_fp8 v[28:31], a[32:33], v[12:13], 0// 0000000051D8: D3F3001C 0A021920
	s_add_u32 s12, s84, s64                                    // 0000000051E0: 800C4054
	s_addc_u32 s13, s85, 0                                     // 0000000051E4: 820D8055
	v_mfma_f32_16x16x32_fp8_fp8 v[28:31], a[34:35], v[14:15], v[28:31]// 0000000051E8: D3F3001C 0C721D22
	s_add_u32 s16, s86, s65                                    // 0000000051F0: 80104156
	s_addc_u32 s17, s87, 0                                     // 0000000051F4: 82118057
	v_mfma_f32_16x16x32_fp8_fp8 v[28:31], a[36:37], v[16:17], v[28:31]// 0000000051F8: D3F3001C 0C722124
	buffer_load_dwordx4 a[0:3], v196, s[12:15], 0 offen        // 000000005200: E05C1000 808300C4
	v_mfma_f32_16x16x32_fp8_fp8 v[28:31], a[38:39], v[18:19], v[28:31]// 000000005208: D3F3001C 0C722526
	s_add_u32 s28, s88, s66                                    // 000000005210: 801C4258
	s_addc_u32 s29, s89, 0                                     // 000000005214: 821D8059
	v_mfma_f32_16x16x32_fp8_fp8 v[32:35], a[40:41], v[12:13], 0// 000000005218: D3F30020 0A021928
	s_add_u32 s32, s90, s66                                    // 000000005220: 8020425A
	s_addc_u32 s33, s91, 0                                     // 000000005224: 8221805B
	v_mfma_f32_16x16x32_fp8_fp8 v[32:35], a[42:43], v[14:15], v[32:35]// 000000005228: D3F30020 0C821D2A
	s_add_u32 s64, s64, 0x1000                                 // 000000005230: 8040FF40 00001000
	s_add_u32 s65, s65, 0x8000                                 // 000000005238: 8041FF41 00008000
	v_mfma_f32_16x16x32_fp8_fp8 v[32:35], a[44:45], v[16:17], v[32:35]// 000000005240: D3F30020 0C82212C
	buffer_load_dwordx4 a[4:7], v197, s[12:15], 0 offen        // 000000005248: E05C1000 808304C5
	v_mfma_f32_16x16x32_fp8_fp8 v[32:35], a[46:47], v[18:19], v[32:35]// 000000005250: D3F30020 0C82252E
	s_add_u32 s66, s66, 0x400                                  // 000000005258: 8042FF42 00000400
	v_mfma_f32_16x16x32_fp8_fp8 v[36:39], a[48:49], v[12:13], 0// 000000005260: D3F30024 0A021930
	v_mfma_f32_16x16x32_fp8_fp8 v[36:39], a[50:51], v[14:15], v[36:39]// 000000005268: D3F30024 0C921D32
	v_mfma_f32_16x16x32_fp8_fp8 v[36:39], a[52:53], v[16:17], v[36:39]// 000000005270: D3F30024 0C922134
	buffer_load_dwordx4 a[8:11], v196, s[12:15], 0 offen offset:1024// 000000005278: E05C1400 808308C4
	v_mfma_f32_16x16x32_fp8_fp8 v[36:39], a[54:55], v[18:19], v[36:39]// 000000005280: D3F30024 0C922536
	v_mfma_f32_16x16x32_fp8_fp8 v[40:43], a[56:57], v[12:13], 0// 000000005288: D3F30028 0A021938
	v_mfma_f32_16x16x32_fp8_fp8 v[40:43], a[58:59], v[14:15], v[40:43]// 000000005290: D3F30028 0CA21D3A
	v_mfma_f32_16x16x32_fp8_fp8 v[40:43], a[60:61], v[16:17], v[40:43]// 000000005298: D3F30028 0CA2213C
	buffer_load_dwordx4 a[12:15], v197, s[12:15], 0 offen offset:1024// 0000000052A0: E05C1400 80830CC5
	v_mfma_f32_16x16x32_fp8_fp8 v[40:43], a[62:63], v[18:19], v[40:43]// 0000000052A8: D3F30028 0CA2253E
	v_mfma_f32_16x16x32_fp8_fp8 v[44:47], a[32:33], v[20:21], 0// 0000000052B0: D3F3002C 0A022920
	v_mfma_f32_16x16x32_fp8_fp8 v[44:47], a[34:35], v[22:23], v[44:47]// 0000000052B8: D3F3002C 0CB22D22
	v_mfma_f32_16x16x32_fp8_fp8 v[44:47], a[36:37], v[24:25], v[44:47]// 0000000052C0: D3F3002C 0CB23124
	buffer_load_dwordx4 a[16:19], v196, s[12:15], 0 offen offset:2048// 0000000052C8: E05C1800 808310C4
	v_mfma_f32_16x16x32_fp8_fp8 v[44:47], a[38:39], v[26:27], v[44:47]// 0000000052D0: D3F3002C 0CB23526
	v_mfma_f32_16x16x32_fp8_fp8 v[48:51], a[40:41], v[20:21], 0// 0000000052D8: D3F30030 0A022928
	v_mfma_f32_16x16x32_fp8_fp8 v[48:51], a[42:43], v[22:23], v[48:51]// 0000000052E0: D3F30030 0CC22D2A
	v_mfma_f32_16x16x32_fp8_fp8 v[48:51], a[44:45], v[24:25], v[48:51]// 0000000052E8: D3F30030 0CC2312C
	buffer_load_dwordx4 a[20:23], v197, s[12:15], 0 offen offset:2048// 0000000052F0: E05C1800 808314C5
	v_mfma_f32_16x16x32_fp8_fp8 v[48:51], a[46:47], v[26:27], v[48:51]// 0000000052F8: D3F30030 0CC2352E
	v_mfma_f32_16x16x32_fp8_fp8 v[52:55], a[48:49], v[20:21], 0// 000000005300: D3F30034 0A022930
	v_mfma_f32_16x16x32_fp8_fp8 v[52:55], a[50:51], v[22:23], v[52:55]// 000000005308: D3F30034 0CD22D32
	v_mfma_f32_16x16x32_fp8_fp8 v[52:55], a[52:53], v[24:25], v[52:55]// 000000005310: D3F30034 0CD23134
	buffer_load_dwordx4 a[24:27], v196, s[12:15], 0 offen offset:3072// 000000005318: E05C1C00 808318C4
	v_mfma_f32_16x16x32_fp8_fp8 v[52:55], a[54:55], v[26:27], v[52:55]// 000000005320: D3F30034 0CD23536
	v_mfma_f32_16x16x32_fp8_fp8 v[56:59], a[56:57], v[20:21], 0// 000000005328: D3F30038 0A022938
	v_mfma_f32_16x16x32_fp8_fp8 v[56:59], a[58:59], v[22:23], v[56:59]// 000000005330: D3F30038 0CE22D3A
	v_mfma_f32_16x16x32_fp8_fp8 v[56:59], a[60:61], v[24:25], v[56:59]// 000000005338: D3F30038 0CE2313C
	buffer_load_dwordx4 a[28:31], v197, s[12:15], 0 offen offset:3072// 000000005340: E05C1C00 80831CC5
	v_mfma_f32_16x16x32_fp8_fp8 v[56:59], a[62:63], v[26:27], v[56:59]// 000000005348: D3F30038 0CE2353E
	s_waitcnt vmcnt(16)                                        // 000000005350: BF8C4F70
	v_pk_mul_f32 v[28:29], v[124:125], v[28:29]                // 000000005354: D3B1401C 1802397C
	v_pk_mul_f32 v[30:31], v[124:125], v[30:31]                // 00000000535C: D3B1401E 18023D7C
	v_mul_f32_dpp v28, v129, v28 row_newbcast:0 row_mask:0xf bank_mask:0xf// 000000005364: 0A3838FA FF015081
	v_mul_f32_dpp v29, v129, v29 row_newbcast:1 row_mask:0xf bank_mask:0xf// 00000000536C: 0A3A3AFA FF015181
	v_mul_f32_dpp v30, v129, v30 row_newbcast:2 row_mask:0xf bank_mask:0xf// 000000005374: 0A3C3CFA FF015281
	v_mul_f32_dpp v31, v129, v31 row_newbcast:3 row_mask:0xf bank_mask:0xf// 00000000537C: 0A3E3EFA FF015381
	v_pk_mul_f32 v[32:33], v[124:125], v[32:33]                // 000000005384: D3B14020 1802417C
	v_pk_mul_f32 v[34:35], v[124:125], v[34:35]                // 00000000538C: D3B14022 1802457C
	v_mul_f32_dpp v32, v129, v32 row_newbcast:4 row_mask:0xf bank_mask:0xf// 000000005394: 0A4040FA FF015481
	v_mul_f32_dpp v33, v129, v33 row_newbcast:5 row_mask:0xf bank_mask:0xf// 00000000539C: 0A4242FA FF015581
	v_mul_f32_dpp v34, v129, v34 row_newbcast:6 row_mask:0xf bank_mask:0xf// 0000000053A4: 0A4444FA FF015681
	v_mul_f32_dpp v35, v129, v35 row_newbcast:7 row_mask:0xf bank_mask:0xf// 0000000053AC: 0A4646FA FF015781
	v_pk_mul_f32 v[36:37], v[124:125], v[36:37]                // 0000000053B4: D3B14024 1802497C
	v_pk_mul_f32 v[38:39], v[124:125], v[38:39]                // 0000000053BC: D3B14026 18024D7C
	v_mul_f32_dpp v36, v129, v36 row_newbcast:8 row_mask:0xf bank_mask:0xf// 0000000053C4: 0A4848FA FF015881
	v_mul_f32_dpp v37, v129, v37 row_newbcast:9 row_mask:0xf bank_mask:0xf// 0000000053CC: 0A4A4AFA FF015981
	v_mul_f32_dpp v38, v129, v38 row_newbcast:10 row_mask:0xf bank_mask:0xf// 0000000053D4: 0A4C4CFA FF015A81
	v_mul_f32_dpp v39, v129, v39 row_newbcast:11 row_mask:0xf bank_mask:0xf// 0000000053DC: 0A4E4EFA FF015B81
	v_pk_mul_f32 v[40:41], v[124:125], v[40:41]                // 0000000053E4: D3B14028 1802517C
	v_pk_mul_f32 v[42:43], v[124:125], v[42:43]                // 0000000053EC: D3B1402A 1802557C
	v_mul_f32_dpp v40, v129, v40 row_newbcast:12 row_mask:0xf bank_mask:0xf// 0000000053F4: 0A5050FA FF015C81
	v_mul_f32_dpp v41, v129, v41 row_newbcast:13 row_mask:0xf bank_mask:0xf// 0000000053FC: 0A5252FA FF015D81
	v_mul_f32_dpp v42, v129, v42 row_newbcast:14 row_mask:0xf bank_mask:0xf// 000000005404: 0A5454FA FF015E81
	v_mul_f32_dpp v43, v129, v43 row_newbcast:15 row_mask:0xf bank_mask:0xf// 00000000540C: 0A5656FA FF015F81
	v_pk_mul_f32 v[44:45], v[126:127], v[44:45]                // 000000005414: D3B1402C 1802597E
	v_pk_mul_f32 v[46:47], v[126:127], v[46:47]                // 00000000541C: D3B1402E 18025D7E
	v_mul_f32_dpp v44, v129, v44 row_newbcast:0 row_mask:0xf bank_mask:0xf// 000000005424: 0A5858FA FF015081
	v_mul_f32_dpp v45, v129, v45 row_newbcast:1 row_mask:0xf bank_mask:0xf// 00000000542C: 0A5A5AFA FF015181
	v_mul_f32_dpp v46, v129, v46 row_newbcast:2 row_mask:0xf bank_mask:0xf// 000000005434: 0A5C5CFA FF015281
	v_mul_f32_dpp v47, v129, v47 row_newbcast:3 row_mask:0xf bank_mask:0xf// 00000000543C: 0A5E5EFA FF015381
	v_pk_mul_f32 v[48:49], v[126:127], v[48:49]                // 000000005444: D3B14030 1802617E
	v_pk_mul_f32 v[50:51], v[126:127], v[50:51]                // 00000000544C: D3B14032 1802657E
	v_mul_f32_dpp v48, v129, v48 row_newbcast:4 row_mask:0xf bank_mask:0xf// 000000005454: 0A6060FA FF015481
	v_mul_f32_dpp v49, v129, v49 row_newbcast:5 row_mask:0xf bank_mask:0xf// 00000000545C: 0A6262FA FF015581
	v_mul_f32_dpp v50, v129, v50 row_newbcast:6 row_mask:0xf bank_mask:0xf// 000000005464: 0A6464FA FF015681
	v_mul_f32_dpp v51, v129, v51 row_newbcast:7 row_mask:0xf bank_mask:0xf// 00000000546C: 0A6666FA FF015781
	v_pk_mul_f32 v[52:53], v[126:127], v[52:53]                // 000000005474: D3B14034 1802697E
	v_pk_mul_f32 v[54:55], v[126:127], v[54:55]                // 00000000547C: D3B14036 18026D7E
	v_mul_f32_dpp v52, v129, v52 row_newbcast:8 row_mask:0xf bank_mask:0xf// 000000005484: 0A6868FA FF015881
	v_mul_f32_dpp v53, v129, v53 row_newbcast:9 row_mask:0xf bank_mask:0xf// 00000000548C: 0A6A6AFA FF015981
	v_mul_f32_dpp v54, v129, v54 row_newbcast:10 row_mask:0xf bank_mask:0xf// 000000005494: 0A6C6CFA FF015A81
	v_mul_f32_dpp v55, v129, v55 row_newbcast:11 row_mask:0xf bank_mask:0xf// 00000000549C: 0A6E6EFA FF015B81
	v_pk_mul_f32 v[56:57], v[126:127], v[56:57]                // 0000000054A4: D3B14038 1802717E
	v_pk_mul_f32 v[58:59], v[126:127], v[58:59]                // 0000000054AC: D3B1403A 1802757E
	v_mul_f32_dpp v56, v129, v56 row_newbcast:12 row_mask:0xf bank_mask:0xf// 0000000054B4: 0A7070FA FF015C81
	v_mul_f32_dpp v57, v129, v57 row_newbcast:13 row_mask:0xf bank_mask:0xf// 0000000054BC: 0A7272FA FF015D81
	v_mul_f32_dpp v58, v129, v58 row_newbcast:14 row_mask:0xf bank_mask:0xf// 0000000054C4: 0A7474FA FF015E81
	v_mul_f32_dpp v59, v129, v59 row_newbcast:15 row_mask:0xf bank_mask:0xf// 0000000054CC: 0A7676FA FF015F81
	v_mov_b32_e32 v146, v28                                    // 0000000054D4: 7F24031C
	v_max3_f32 v146, v28, v29, v146                            // 0000000054D8: D1D30092 064A3B1C
	v_max3_f32 v146, v30, v31, v146                            // 0000000054E0: D1D30092 064A3F1E
	v_max3_f32 v146, v32, v33, v146                            // 0000000054E8: D1D30092 064A4320
	v_max3_f32 v146, v34, v35, v146                            // 0000000054F0: D1D30092 064A4722
	v_max3_f32 v146, v36, v37, v146                            // 0000000054F8: D1D30092 064A4B24
	v_max3_f32 v146, v38, v39, v146                            // 000000005500: D1D30092 064A4F26
	v_max3_f32 v146, v40, v41, v146                            // 000000005508: D1D30092 064A5328
	v_max3_f32 v146, v42, v43, v146                            // 000000005510: D1D30092 064A572A
	v_mov_b32_e32 v147, v44                                    // 000000005518: 7F26032C
	v_max3_f32 v147, v44, v45, v147                            // 00000000551C: D1D30093 064E5B2C
	v_max3_f32 v147, v46, v47, v147                            // 000000005524: D1D30093 064E5F2E
	v_max3_f32 v147, v48, v49, v147                            // 00000000552C: D1D30093 064E6330
	v_max3_f32 v147, v50, v51, v147                            // 000000005534: D1D30093 064E6732
	v_max3_f32 v147, v52, v53, v147                            // 00000000553C: D1D30093 064E6B34
	v_max3_f32 v147, v54, v55, v147                            // 000000005544: D1D30093 064E6F36
	v_max3_f32 v147, v56, v57, v147                            // 00000000554C: D1D30093 064E7338
	v_max3_f32 v147, v58, v59, v147                            // 000000005554: D1D30093 064E773A
	ds_write_b64 v210, v[146:147]                              // 00000000555C: D89A0000 000092D2
	v_pk_mul_f32 v[108:109], v[140:141], v[108:109]            // 000000005564: D3B1406C 1802D98C
	v_pk_mul_f32 v[110:111], v[140:141], v[110:111]            // 00000000556C: D3B1406E 1802DD8C
	v_pk_mul_f32 v[112:113], v[140:141], v[112:113]            // 000000005574: D3B14070 1802E18C
	v_pk_mul_f32 v[114:115], v[140:141], v[114:115]            // 00000000557C: D3B14072 1802E58C
	v_pk_mul_f32 v[116:117], v[142:143], v[116:117]            // 000000005584: D3B14074 1802E98E
	v_pk_mul_f32 v[118:119], v[142:143], v[118:119]            // 00000000558C: D3B14076 1802ED8E
	v_pk_mul_f32 v[120:121], v[142:143], v[120:121]            // 000000005594: D3B14078 1802F18E
	v_pk_mul_f32 v[122:123], v[142:143], v[122:123]            // 00000000559C: D3B1407A 1802F58E
	s_waitcnt lgkmcnt(0)                                       // 0000000055A4: BF8CC07F
	s_barrier                                                  // 0000000055A8: BF8A0000
	ds_read_b64 v[148:149], v211                               // 0000000055AC: D8EC0000 940000D3
	ds_read_b64 v[150:151], v211 offset:128                    // 0000000055B4: D8EC0080 960000D3
	ds_read_b64 v[152:153], v211 offset:256                    // 0000000055BC: D8EC0100 980000D3
	ds_read_b64 v[154:155], v211 offset:384                    // 0000000055C4: D8EC0180 9A0000D3
	ds_read_b64 v[156:157], v211 offset:512                    // 0000000055CC: D8EC0200 9C0000D3
	ds_read_b64 v[158:159], v211 offset:640                    // 0000000055D4: D8EC0280 9E0000D3
	ds_read_b64 v[160:161], v211 offset:768                    // 0000000055DC: D8EC0300 A00000D3
	ds_read_b64 v[162:163], v211 offset:896                    // 0000000055E4: D8EC0380 A20000D3
	ds_read_b64 v[164:165], v211 offset:1024                   // 0000000055EC: D8EC0400 A40000D3
	ds_read_b64 v[166:167], v211 offset:1152                   // 0000000055F4: D8EC0480 A60000D3
	ds_read_b64 v[168:169], v211 offset:1280                   // 0000000055FC: D8EC0500 A80000D3
	ds_read_b64 v[170:171], v211 offset:1408                   // 000000005604: D8EC0580 AA0000D3
	ds_read_b64 v[172:173], v211 offset:1536                   // 00000000560C: D8EC0600 AC0000D3
	ds_read_b64 v[174:175], v211 offset:1664                   // 000000005614: D8EC0680 AE0000D3
	ds_read_b64 v[176:177], v211 offset:1792                   // 00000000561C: D8EC0700 B00000D3
	ds_read_b64 v[178:179], v211 offset:1920                   // 000000005624: D8EC0780 B20000D3
	v_pk_mul_f32 v[92:93], v[132:133], v[92:93]                // 00000000562C: D3B1405C 1802B984
	v_pk_mul_f32 v[94:95], v[132:133], v[94:95]                // 000000005634: D3B1405E 1802BD84
	v_pk_mul_f32 v[96:97], v[132:133], v[96:97]                // 00000000563C: D3B14060 1802C184
	v_pk_mul_f32 v[98:99], v[132:133], v[98:99]                // 000000005644: D3B14062 1802C584
	v_pk_mul_f32 v[100:101], v[134:135], v[100:101]            // 00000000564C: D3B14064 1802C986
	v_pk_mul_f32 v[102:103], v[134:135], v[102:103]            // 000000005654: D3B14066 1802CD86
	v_pk_mul_f32 v[104:105], v[134:135], v[104:105]            // 00000000565C: D3B14068 1802D186
	v_pk_mul_f32 v[106:107], v[134:135], v[106:107]            // 000000005664: D3B1406A 1802D586
	s_waitcnt lgkmcnt(0)                                       // 00000000566C: BF8CC07F
	v_max3_f32 v146, v148, v150, v146                          // 000000005670: D1D30092 064B2D94
	v_max3_f32 v147, v149, v151, v147                          // 000000005678: D1D30093 064F2F95
	v_max3_f32 v146, v152, v154, v146                          // 000000005680: D1D30092 064B3598
	v_max3_f32 v147, v153, v155, v147                          // 000000005688: D1D30093 064F3799
	v_max3_f32 v146, v156, v158, v146                          // 000000005690: D1D30092 064B3D9C
	v_max3_f32 v147, v157, v159, v147                          // 000000005698: D1D30093 064F3F9D
	v_max3_f32 v146, v160, v162, v146                          // 0000000056A0: D1D30092 064B45A0
	v_max3_f32 v147, v161, v163, v147                          // 0000000056A8: D1D30093 064F47A1
	v_max3_f32 v146, v164, v166, v146                          // 0000000056B0: D1D30092 064B4DA4
	v_max3_f32 v147, v165, v167, v147                          // 0000000056B8: D1D30093 064F4FA5
	v_max3_f32 v146, v168, v170, v146                          // 0000000056C0: D1D30092 064B55A8
	v_max3_f32 v147, v169, v171, v147                          // 0000000056C8: D1D30093 064F57A9
	v_max3_f32 v146, v172, v174, v146                          // 0000000056D0: D1D30092 064B5DAC
	v_max3_f32 v147, v173, v175, v147                          // 0000000056D8: D1D30093 064F5FAD
	v_max3_f32 v146, v176, v178, v146                          // 0000000056E0: D1D30092 064B65B0
	v_max3_f32 v147, v177, v179, v147                          // 0000000056E8: D1D30093 064F67B1
	v_max_f32_e32 v138, v146, v136                             // 0000000056F0: 17151192
	v_mul_f32_e64 v180, -s51, v138                             // 0000000056F4: D10500B4 20031433
	v_mov_b32_e32 v181, v180                                   // 0000000056FC: 7F6A03B4
	v_pk_fma_f32 v[28:29], v[28:29], s[68:69], v[180:181]      // 000000005700: D3B0401C 1ED0891C
	v_pk_fma_f32 v[30:31], v[30:31], s[68:69], v[180:181]      // 000000005708: D3B0401E 1ED0891E
	v_exp_f32_e32 v28, v28                                     // 000000005710: 7E38411C
	v_exp_f32_e32 v29, v29                                     // 000000005714: 7E3A411D
	v_exp_f32_e32 v30, v30                                     // 000000005718: 7E3C411E
	v_exp_f32_e32 v31, v31                                     // 00000000571C: 7E3E411F
	v_pk_fma_f32 v[32:33], v[32:33], s[68:69], v[180:181]      // 000000005720: D3B04020 1ED08920
	v_pk_fma_f32 v[34:35], v[34:35], s[68:69], v[180:181]      // 000000005728: D3B04022 1ED08922
	v_exp_f32_e32 v32, v32                                     // 000000005730: 7E404120
	v_exp_f32_e32 v33, v33                                     // 000000005734: 7E424121
	v_exp_f32_e32 v34, v34                                     // 000000005738: 7E444122
	v_exp_f32_e32 v35, v35                                     // 00000000573C: 7E464123
	v_pk_fma_f32 v[36:37], v[36:37], s[68:69], v[180:181]      // 000000005740: D3B04024 1ED08924
	v_pk_fma_f32 v[38:39], v[38:39], s[68:69], v[180:181]      // 000000005748: D3B04026 1ED08926
	v_exp_f32_e32 v36, v36                                     // 000000005750: 7E484124
	v_exp_f32_e32 v37, v37                                     // 000000005754: 7E4A4125
	v_exp_f32_e32 v38, v38                                     // 000000005758: 7E4C4126
	v_exp_f32_e32 v39, v39                                     // 00000000575C: 7E4E4127
	v_pk_fma_f32 v[40:41], v[40:41], s[68:69], v[180:181]      // 000000005760: D3B04028 1ED08928
	v_pk_fma_f32 v[42:43], v[42:43], s[68:69], v[180:181]      // 000000005768: D3B0402A 1ED0892A
	v_exp_f32_e32 v40, v40                                     // 000000005770: 7E504128
	v_exp_f32_e32 v41, v41                                     // 000000005774: 7E524129
	v_exp_f32_e32 v42, v42                                     // 000000005778: 7E54412A
	v_exp_f32_e32 v43, v43                                     // 00000000577C: 7E56412B
	v_max_f32_e32 v139, v147, v137                             // 000000005780: 17171393
	v_mul_f32_e64 v180, -s51, v139                             // 000000005784: D10500B4 20031633
	v_mov_b32_e32 v181, v180                                   // 00000000578C: 7F6A03B4
	v_pk_fma_f32 v[44:45], v[44:45], s[68:69], v[180:181]      // 000000005790: D3B0402C 1ED0892C
	v_pk_fma_f32 v[46:47], v[46:47], s[68:69], v[180:181]      // 000000005798: D3B0402E 1ED0892E
	v_exp_f32_e32 v44, v44                                     // 0000000057A0: 7E58412C
	v_exp_f32_e32 v45, v45                                     // 0000000057A4: 7E5A412D
	v_exp_f32_e32 v46, v46                                     // 0000000057A8: 7E5C412E
	v_exp_f32_e32 v47, v47                                     // 0000000057AC: 7E5E412F
	v_pk_fma_f32 v[48:49], v[48:49], s[68:69], v[180:181]      // 0000000057B0: D3B04030 1ED08930
	v_pk_fma_f32 v[50:51], v[50:51], s[68:69], v[180:181]      // 0000000057B8: D3B04032 1ED08932
	v_exp_f32_e32 v48, v48                                     // 0000000057C0: 7E604130
	v_exp_f32_e32 v49, v49                                     // 0000000057C4: 7E624131
	v_exp_f32_e32 v50, v50                                     // 0000000057C8: 7E644132
	v_exp_f32_e32 v51, v51                                     // 0000000057CC: 7E664133
	v_pk_fma_f32 v[52:53], v[52:53], s[68:69], v[180:181]      // 0000000057D0: D3B04034 1ED08934
	v_pk_fma_f32 v[54:55], v[54:55], s[68:69], v[180:181]      // 0000000057D8: D3B04036 1ED08936
	v_exp_f32_e32 v52, v52                                     // 0000000057E0: 7E684134
	v_exp_f32_e32 v53, v53                                     // 0000000057E4: 7E6A4135
	v_exp_f32_e32 v54, v54                                     // 0000000057E8: 7E6C4136
	v_exp_f32_e32 v55, v55                                     // 0000000057EC: 7E6E4137
	v_pk_fma_f32 v[56:57], v[56:57], s[68:69], v[180:181]      // 0000000057F0: D3B04038 1ED08938
	v_pk_fma_f32 v[58:59], v[58:59], s[68:69], v[180:181]      // 0000000057F8: D3B0403A 1ED0893A
	v_exp_f32_e32 v56, v56                                     // 000000005800: 7E704138
	v_exp_f32_e32 v57, v57                                     // 000000005804: 7E724139
	v_exp_f32_e32 v58, v58                                     // 000000005808: 7E74413A
	v_exp_f32_e32 v59, v59                                     // 00000000580C: 7E76413B
	v_mul_f32_dpp v60, v131, v28 row_newbcast:0 row_mask:0xf bank_mask:0xf// 000000005810: 0A7838FA FF015083
	v_mul_f32_dpp v61, v131, v29 row_newbcast:1 row_mask:0xf bank_mask:0xf// 000000005818: 0A7A3AFA FF015183
	v_mul_f32_dpp v62, v131, v30 row_newbcast:2 row_mask:0xf bank_mask:0xf// 000000005820: 0A7C3CFA FF015283
	v_mul_f32_dpp v63, v131, v31 row_newbcast:3 row_mask:0xf bank_mask:0xf// 000000005828: 0A7E3EFA FF015383
	v_mul_f32_dpp v64, v131, v32 row_newbcast:4 row_mask:0xf bank_mask:0xf// 000000005830: 0A8040FA FF015483
	v_mul_f32_dpp v65, v131, v33 row_newbcast:5 row_mask:0xf bank_mask:0xf// 000000005838: 0A8242FA FF015583
	v_mul_f32_dpp v66, v131, v34 row_newbcast:6 row_mask:0xf bank_mask:0xf// 000000005840: 0A8444FA FF015683
	v_mul_f32_dpp v67, v131, v35 row_newbcast:7 row_mask:0xf bank_mask:0xf// 000000005848: 0A8646FA FF015783
	v_mul_f32_dpp v68, v131, v36 row_newbcast:8 row_mask:0xf bank_mask:0xf// 000000005850: 0A8848FA FF015883
	v_mul_f32_dpp v69, v131, v37 row_newbcast:9 row_mask:0xf bank_mask:0xf// 000000005858: 0A8A4AFA FF015983
	v_mul_f32_dpp v70, v131, v38 row_newbcast:10 row_mask:0xf bank_mask:0xf// 000000005860: 0A8C4CFA FF015A83
	v_mul_f32_dpp v71, v131, v39 row_newbcast:11 row_mask:0xf bank_mask:0xf// 000000005868: 0A8E4EFA FF015B83
	v_mul_f32_dpp v72, v131, v40 row_newbcast:12 row_mask:0xf bank_mask:0xf// 000000005870: 0A9050FA FF015C83
	v_mul_f32_dpp v73, v131, v41 row_newbcast:13 row_mask:0xf bank_mask:0xf// 000000005878: 0A9252FA FF015D83
	v_mul_f32_dpp v74, v131, v42 row_newbcast:14 row_mask:0xf bank_mask:0xf// 000000005880: 0A9454FA FF015E83
	v_mul_f32_dpp v75, v131, v43 row_newbcast:15 row_mask:0xf bank_mask:0xf// 000000005888: 0A9656FA FF015F83
	v_mul_f32_dpp v76, v131, v44 row_newbcast:0 row_mask:0xf bank_mask:0xf// 000000005890: 0A9858FA FF015083
	v_mul_f32_dpp v77, v131, v45 row_newbcast:1 row_mask:0xf bank_mask:0xf// 000000005898: 0A9A5AFA FF015183
	v_mul_f32_dpp v78, v131, v46 row_newbcast:2 row_mask:0xf bank_mask:0xf// 0000000058A0: 0A9C5CFA FF015283
	v_mul_f32_dpp v79, v131, v47 row_newbcast:3 row_mask:0xf bank_mask:0xf// 0000000058A8: 0A9E5EFA FF015383
	v_mul_f32_dpp v80, v131, v48 row_newbcast:4 row_mask:0xf bank_mask:0xf// 0000000058B0: 0AA060FA FF015483
	v_mul_f32_dpp v81, v131, v49 row_newbcast:5 row_mask:0xf bank_mask:0xf// 0000000058B8: 0AA262FA FF015583
	v_mul_f32_dpp v82, v131, v50 row_newbcast:6 row_mask:0xf bank_mask:0xf// 0000000058C0: 0AA464FA FF015683
	v_mul_f32_dpp v83, v131, v51 row_newbcast:7 row_mask:0xf bank_mask:0xf// 0000000058C8: 0AA666FA FF015783
	v_mul_f32_dpp v84, v131, v52 row_newbcast:8 row_mask:0xf bank_mask:0xf// 0000000058D0: 0AA868FA FF015883
	v_mul_f32_dpp v85, v131, v53 row_newbcast:9 row_mask:0xf bank_mask:0xf// 0000000058D8: 0AAA6AFA FF015983
	v_mul_f32_dpp v86, v131, v54 row_newbcast:10 row_mask:0xf bank_mask:0xf// 0000000058E0: 0AAC6CFA FF015A83
	v_mul_f32_dpp v87, v131, v55 row_newbcast:11 row_mask:0xf bank_mask:0xf// 0000000058E8: 0AAE6EFA FF015B83
	v_mul_f32_dpp v88, v131, v56 row_newbcast:12 row_mask:0xf bank_mask:0xf// 0000000058F0: 0AB070FA FF015C83
	v_mul_f32_dpp v89, v131, v57 row_newbcast:13 row_mask:0xf bank_mask:0xf// 0000000058F8: 0AB272FA FF015D83
	v_mul_f32_dpp v90, v131, v58 row_newbcast:14 row_mask:0xf bank_mask:0xf// 000000005900: 0AB474FA FF015E83
	v_mul_f32_dpp v91, v131, v59 row_newbcast:15 row_mask:0xf bank_mask:0xf// 000000005908: 0AB676FA FF015F83
	v_mov_b32_e32 v146, 0x358637bd                             // 000000005910: 7F2402FF 358637BD
	v_max3_f32 v146, |v60|, |v61|, v146                        // 000000005918: D1D30392 064A7B3C
	v_max3_f32 v146, |v62|, |v63|, v146                        // 000000005920: D1D30392 064A7F3E
	v_max3_f32 v146, |v64|, |v65|, v146                        // 000000005928: D1D30392 064A8340
	v_max3_f32 v146, |v66|, |v67|, v146                        // 000000005930: D1D30392 064A8742
	v_max3_f32 v146, |v68|, |v69|, v146                        // 000000005938: D1D30392 064A8B44
	v_max3_f32 v146, |v70|, |v71|, v146                        // 000000005940: D1D30392 064A8F46
	v_max3_f32 v146, |v72|, |v73|, v146                        // 000000005948: D1D30392 064A9348
	v_max3_f32 v146, |v74|, |v75|, v146                        // 000000005950: D1D30392 064A974A
	v_mov_b32_e32 v147, 0x358637bd                             // 000000005958: 7F2602FF 358637BD
	v_max3_f32 v147, |v76|, |v77|, v147                        // 000000005960: D1D30393 064E9B4C
	v_max3_f32 v147, |v78|, |v79|, v147                        // 000000005968: D1D30393 064E9F4E
	v_max3_f32 v147, |v80|, |v81|, v147                        // 000000005970: D1D30393 064EA350
	v_max3_f32 v147, |v82|, |v83|, v147                        // 000000005978: D1D30393 064EA752
	v_max3_f32 v147, |v84|, |v85|, v147                        // 000000005980: D1D30393 064EAB54
	v_max3_f32 v147, |v86|, |v87|, v147                        // 000000005988: D1D30393 064EAF56
	v_max3_f32 v147, |v88|, |v89|, v147                        // 000000005990: D1D30393 064EB358
	v_max3_f32 v147, |v90|, |v91|, v147                        // 000000005998: D1D30393 064EB75A
	ds_write_b64 v210, v[146:147] offset:2304                  // 0000000059A0: D89A0900 000092D2
	buffer_load_dword v128, v202, s[28:31], 0 offen            // 0000000059A8: E0501000 800780CA
	v_sub_f32_e32 v140, v136, v138                             // 0000000059B0: 05191588
	v_cmp_eq_u32_e64 s[92:93], v191, v136                      // 0000000059B4: D0CA005C 000311BF
	s_nop 0                                                    // 0000000059BC: BF800000
	v_cndmask_b32_e64 v140, v140, 0, s[92:93]                  // 0000000059C0: D100008C 0171018C
	v_mov_b32_e32 v136, v138                                   // 0000000059C8: 7F10038A
	v_mul_f32_e32 v140, s51, v140                              // 0000000059CC: 0B191833
	v_exp_f32_e32 v140, v140                                   // 0000000059D0: 7F18418C
	v_sub_f32_e32 v142, v137, v139                             // 0000000059D4: 051D1789
	v_cmp_eq_u32_e64 s[92:93], v191, v137                      // 0000000059D8: D0CA005C 000313BF
	s_nop 0                                                    // 0000000059E0: BF800000
	v_cndmask_b32_e64 v142, v142, 0, s[92:93]                  // 0000000059E4: D100008E 0171018E
	v_mov_b32_e32 v137, v139                                   // 0000000059EC: 7F12038B
	v_mul_f32_e32 v142, s51, v142                              // 0000000059F0: 0B1D1C33
	v_exp_f32_e32 v142, v142                                   // 0000000059F4: 7F1C418E
	v_mov_b32_e32 v141, v140                                   // 0000000059F8: 7F1A038C
	v_mov_b32_e32 v143, v142                                   // 0000000059FC: 7F1E038E
	buffer_load_dword v130, v203, s[32:35], 0 offen            // 000000005A00: E0501000 800882CB
	s_waitcnt lgkmcnt(0)                                       // 000000005A08: BF8CC07F
	s_barrier                                                  // 000000005A0C: BF8A0000
	ds_read_b64 v[148:149], v211 offset:2304                   // 000000005A10: D8EC0900 940000D3
	ds_read_b64 v[150:151], v211 offset:2432                   // 000000005A18: D8EC0980 960000D3
	ds_read_b64 v[152:153], v211 offset:2560                   // 000000005A20: D8EC0A00 980000D3
	ds_read_b64 v[154:155], v211 offset:2688                   // 000000005A28: D8EC0A80 9A0000D3
	ds_read_b64 v[156:157], v211 offset:2816                   // 000000005A30: D8EC0B00 9C0000D3
	ds_read_b64 v[158:159], v211 offset:2944                   // 000000005A38: D8EC0B80 9E0000D3
	ds_read_b64 v[160:161], v211 offset:3072                   // 000000005A40: D8EC0C00 A00000D3
	ds_read_b64 v[162:163], v211 offset:3200                   // 000000005A48: D8EC0C80 A20000D3
	ds_read_b64 v[164:165], v211 offset:3328                   // 000000005A50: D8EC0D00 A40000D3
	ds_read_b64 v[166:167], v211 offset:3456                   // 000000005A58: D8EC0D80 A60000D3
	ds_read_b64 v[168:169], v211 offset:3584                   // 000000005A60: D8EC0E00 A80000D3
	ds_read_b64 v[170:171], v211 offset:3712                   // 000000005A68: D8EC0E80 AA0000D3
	ds_read_b64 v[172:173], v211 offset:3840                   // 000000005A70: D8EC0F00 AC0000D3
	ds_read_b64 v[174:175], v211 offset:3968                   // 000000005A78: D8EC0F80 AE0000D3
	ds_read_b64 v[176:177], v211 offset:4096                   // 000000005A80: D8EC1000 B00000D3
	ds_read_b64 v[178:179], v211 offset:4224                   // 000000005A88: D8EC1080 B20000D3
	v_mul_f32_e32 v144, v140, v144                             // 000000005A90: 0B21218C
	v_add_f32_e32 v144, v28, v144                              // 000000005A94: 0321211C
	v_add_f32_e32 v144, v29, v144                              // 000000005A98: 0321211D
	v_add_f32_e32 v144, v30, v144                              // 000000005A9C: 0321211E
	v_add_f32_e32 v144, v31, v144                              // 000000005AA0: 0321211F
	v_add_f32_e32 v144, v32, v144                              // 000000005AA4: 03212120
	v_add_f32_e32 v144, v33, v144                              // 000000005AA8: 03212121
	v_add_f32_e32 v144, v34, v144                              // 000000005AAC: 03212122
	v_add_f32_e32 v144, v35, v144                              // 000000005AB0: 03212123
	v_add_f32_e32 v144, v36, v144                              // 000000005AB4: 03212124
	v_add_f32_e32 v144, v37, v144                              // 000000005AB8: 03212125
	v_add_f32_e32 v144, v38, v144                              // 000000005ABC: 03212126
	v_add_f32_e32 v144, v39, v144                              // 000000005AC0: 03212127
	v_add_f32_e32 v144, v40, v144                              // 000000005AC4: 03212128
	v_add_f32_e32 v144, v41, v144                              // 000000005AC8: 03212129
	v_add_f32_e32 v144, v42, v144                              // 000000005ACC: 0321212A
	v_add_f32_e32 v144, v43, v144                              // 000000005AD0: 0321212B
	v_mul_f32_e32 v145, v142, v145                             // 000000005AD4: 0B23238E
	v_add_f32_e32 v145, v44, v145                              // 000000005AD8: 0323232C
	v_add_f32_e32 v145, v45, v145                              // 000000005ADC: 0323232D
	v_add_f32_e32 v145, v46, v145                              // 000000005AE0: 0323232E
	v_add_f32_e32 v145, v47, v145                              // 000000005AE4: 0323232F
	v_add_f32_e32 v145, v48, v145                              // 000000005AE8: 03232330
	v_add_f32_e32 v145, v49, v145                              // 000000005AEC: 03232331
	v_add_f32_e32 v145, v50, v145                              // 000000005AF0: 03232332
	v_add_f32_e32 v145, v51, v145                              // 000000005AF4: 03232333
	v_add_f32_e32 v145, v52, v145                              // 000000005AF8: 03232334
	v_add_f32_e32 v145, v53, v145                              // 000000005AFC: 03232335
	v_add_f32_e32 v145, v54, v145                              // 000000005B00: 03232336
	v_add_f32_e32 v145, v55, v145                              // 000000005B04: 03232337
	v_add_f32_e32 v145, v56, v145                              // 000000005B08: 03232338
	v_add_f32_e32 v145, v57, v145                              // 000000005B0C: 03232339
	v_add_f32_e32 v145, v58, v145                              // 000000005B10: 0323233A
	v_add_f32_e32 v145, v59, v145                              // 000000005B14: 0323233B
	s_waitcnt lgkmcnt(0)                                       // 000000005B18: BF8CC07F
	v_max3_f32 v146, v148, v150, v146                          // 000000005B1C: D1D30092 064B2D94
	v_max3_f32 v147, v149, v151, v147                          // 000000005B24: D1D30093 064F2F95
	v_max3_f32 v146, v152, v154, v146                          // 000000005B2C: D1D30092 064B3598
	v_max3_f32 v147, v153, v155, v147                          // 000000005B34: D1D30093 064F3799
	v_max3_f32 v146, v156, v158, v146                          // 000000005B3C: D1D30092 064B3D9C
	v_max3_f32 v147, v157, v159, v147                          // 000000005B44: D1D30093 064F3F9D
	v_max3_f32 v146, v160, v162, v146                          // 000000005B4C: D1D30092 064B45A0
	v_max3_f32 v147, v161, v163, v147                          // 000000005B54: D1D30093 064F47A1
	v_max3_f32 v146, v164, v166, v146                          // 000000005B5C: D1D30092 064B4DA4
	v_max3_f32 v147, v165, v167, v147                          // 000000005B64: D1D30093 064F4FA5
	v_max3_f32 v146, v168, v170, v146                          // 000000005B6C: D1D30092 064B55A8
	v_max3_f32 v147, v169, v171, v147                          // 000000005B74: D1D30093 064F57A9
	v_max3_f32 v146, v172, v174, v146                          // 000000005B7C: D1D30092 064B5DAC
	v_max3_f32 v147, v173, v175, v147                          // 000000005B84: D1D30093 064F5FAD
	v_max3_f32 v146, v176, v178, v146                          // 000000005B8C: D1D30092 064B65B0
	v_max3_f32 v147, v177, v179, v147                          // 000000005B94: D1D30093 064F67B1
	v_rcp_f32_e32 v146, v146                                   // 000000005B9C: 7F244592
	v_rcp_f32_e32 v147, v147                                   // 000000005BA0: 7F264593
	v_mul_f32_e32 v146, 0x43700000, v146                       // 000000005BA4: 0B2524FF 43700000
	v_mul_f32_e32 v147, 0x43700000, v147                       // 000000005BAC: 0B2726FF 43700000
	v_mul_f32_e32 v28, v146, v60                               // 000000005BB4: 0A387992
	v_mul_f32_e32 v29, v146, v61                               // 000000005BB8: 0A3A7B92
	v_mul_f32_e32 v30, v146, v62                               // 000000005BBC: 0A3C7D92
	v_mul_f32_e32 v31, v146, v63                               // 000000005BC0: 0A3E7F92
	v_mul_f32_e32 v32, v146, v64                               // 000000005BC4: 0A408192
	v_mul_f32_e32 v33, v146, v65                               // 000000005BC8: 0A428392
	v_mul_f32_e32 v34, v146, v66                               // 000000005BCC: 0A448592
	v_mul_f32_e32 v35, v146, v67                               // 000000005BD0: 0A468792
	v_mul_f32_e32 v36, v146, v68                               // 000000005BD4: 0A488992
	v_mul_f32_e32 v37, v146, v69                               // 000000005BD8: 0A4A8B92
	v_mul_f32_e32 v38, v146, v70                               // 000000005BDC: 0A4C8D92
	v_mul_f32_e32 v39, v146, v71                               // 000000005BE0: 0A4E8F92
	v_mul_f32_e32 v40, v146, v72                               // 000000005BE4: 0A509192
	v_mul_f32_e32 v41, v146, v73                               // 000000005BE8: 0A529392
	v_mul_f32_e32 v42, v146, v74                               // 000000005BEC: 0A549592
	v_mul_f32_e32 v43, v146, v75                               // 000000005BF0: 0A569792
	v_mul_f32_e32 v44, v147, v76                               // 000000005BF4: 0A589993
	v_mul_f32_e32 v45, v147, v77                               // 000000005BF8: 0A5A9B93
	v_mul_f32_e32 v46, v147, v78                               // 000000005BFC: 0A5C9D93
	v_mul_f32_e32 v47, v147, v79                               // 000000005C00: 0A5E9F93
	v_mul_f32_e32 v48, v147, v80                               // 000000005C04: 0A60A193
	v_mul_f32_e32 v49, v147, v81                               // 000000005C08: 0A62A393
	v_mul_f32_e32 v50, v147, v82                               // 000000005C0C: 0A64A593
	v_mul_f32_e32 v51, v147, v83                               // 000000005C10: 0A66A793
	v_mul_f32_e32 v52, v147, v84                               // 000000005C14: 0A68A993
	v_mul_f32_e32 v53, v147, v85                               // 000000005C18: 0A6AAB93
	v_mul_f32_e32 v54, v147, v86                               // 000000005C1C: 0A6CAD93
	v_mul_f32_e32 v55, v147, v87                               // 000000005C20: 0A6EAF93
	v_mul_f32_e32 v56, v147, v88                               // 000000005C24: 0A70B193
	v_mul_f32_e32 v57, v147, v89                               // 000000005C28: 0A72B393
	v_mul_f32_e32 v58, v147, v90                               // 000000005C2C: 0A74B593
	v_mul_f32_e32 v59, v147, v91                               // 000000005C30: 0A76B793
	v_cvt_pk_fp8_f32 v28, v28, v29                             // 000000005C34: D2A2001C 00023B1C
	v_cvt_pk_fp8_f32 v28, v30, v31 op_sel:[0,0,1]              // 000000005C3C: D2A2401C 00023F1E
	v_cvt_pk_fp8_f32 v29, v32, v33                             // 000000005C44: D2A2001D 00024320
	v_cvt_pk_fp8_f32 v29, v34, v35 op_sel:[0,0,1]              // 000000005C4C: D2A2401D 00024722
	v_cvt_pk_fp8_f32 v30, v36, v37                             // 000000005C54: D2A2001E 00024B24
	v_cvt_pk_fp8_f32 v30, v38, v39 op_sel:[0,0,1]              // 000000005C5C: D2A2401E 00024F26
	v_cvt_pk_fp8_f32 v31, v40, v41                             // 000000005C64: D2A2001F 00025328
	v_cvt_pk_fp8_f32 v31, v42, v43 op_sel:[0,0,1]              // 000000005C6C: D2A2401F 0002572A
	v_cvt_pk_fp8_f32 v32, v44, v45                             // 000000005C74: D2A20020 00025B2C
	v_cvt_pk_fp8_f32 v32, v46, v47 op_sel:[0,0,1]              // 000000005C7C: D2A24020 00025F2E
	v_cvt_pk_fp8_f32 v33, v48, v49                             // 000000005C84: D2A20021 00026330
	v_cvt_pk_fp8_f32 v33, v50, v51 op_sel:[0,0,1]              // 000000005C8C: D2A24021 00026732
	v_cvt_pk_fp8_f32 v34, v52, v53                             // 000000005C94: D2A20022 00026B34
	v_cvt_pk_fp8_f32 v34, v54, v55 op_sel:[0,0,1]              // 000000005C9C: D2A24022 00026F36
	v_cvt_pk_fp8_f32 v35, v56, v57                             // 000000005CA4: D2A20023 00027338
	v_cvt_pk_fp8_f32 v35, v58, v59 op_sel:[0,0,1]              // 000000005CAC: D2A24023 0002773A
	ds_write_b32 v212, v28 offset:4608                         // 000000005CB4: D81A1200 00001CD4
	ds_write_b32 v212, v29 offset:5632                         // 000000005CBC: D81A1600 00001DD4
	ds_write_b32 v212, v30 offset:6656                         // 000000005CC4: D81A1A00 00001ED4
	ds_write_b32 v212, v31 offset:7680                         // 000000005CCC: D81A1E00 00001FD4
	ds_write_b32 v212, v32 offset:8704                         // 000000005CD4: D81A2200 000020D4
	ds_write_b32 v212, v33 offset:9728                         // 000000005CDC: D81A2600 000021D4
	ds_write_b32 v212, v34 offset:10752                        // 000000005CE4: D81A2A00 000022D4
	ds_write_b32 v212, v35 offset:11776                        // 000000005CEC: D81A2E00 000023D4
	v_rcp_f32_e32 v132, v146                                   // 000000005CF4: 7F084592
	v_rcp_f32_e32 v134, v147                                   // 000000005CF8: 7F0C4593
	v_mov_b32_e32 v133, v132                                   // 000000005CFC: 7F0A0384
	v_mov_b32_e32 v135, v134                                   // 000000005D00: 7F0E0386
	v_pk_add_f32 v[108:109], v[108:109], v[92:93]              // 000000005D04: D3B2406C 1802B96C
	v_pk_add_f32 v[110:111], v[110:111], v[94:95]              // 000000005D0C: D3B2406E 1802BD6E
	v_pk_add_f32 v[112:113], v[112:113], v[96:97]              // 000000005D14: D3B24070 1802C170
	v_pk_add_f32 v[114:115], v[114:115], v[98:99]              // 000000005D1C: D3B24072 1802C572
	v_pk_add_f32 v[116:117], v[116:117], v[100:101]            // 000000005D24: D3B24074 1802C974
	v_pk_add_f32 v[118:119], v[118:119], v[102:103]            // 000000005D2C: D3B24076 1802CD76
	v_pk_add_f32 v[120:121], v[120:121], v[104:105]            // 000000005D34: D3B24078 1802D178
	v_pk_add_f32 v[122:123], v[122:123], v[106:107]            // 000000005D3C: D3B2407A 1802D57A
	s_waitcnt lgkmcnt(0)                                       // 000000005D44: BF8CC07F
	s_barrier                                                  // 000000005D48: BF8A0000
	ds_read_b128 v[28:31], v213 offset:4608                    // 000000005D4C: D9FE1200 1C0000D5
	ds_read_b128 v[32:35], v213 offset:5632                    // 000000005D54: D9FE1600 200000D5
	ds_read_b128 v[36:39], v213 offset:6656                    // 000000005D5C: D9FE1A00 240000D5
	ds_read_b128 v[40:43], v213 offset:7680                    // 000000005D64: D9FE1E00 280000D5
	ds_read_b128 v[44:47], v213 offset:8704                    // 000000005D6C: D9FE2200 2C0000D5
	ds_read_b128 v[48:51], v213 offset:9728                    // 000000005D74: D9FE2600 300000D5
	ds_read_b128 v[52:55], v213 offset:10752                   // 000000005D7C: D9FE2A00 340000D5
	ds_read_b128 v[56:59], v213 offset:11776                   // 000000005D84: D9FE2E00 380000D5
	s_waitcnt vmcnt(10)                                        // 000000005D8C: BF8C0F7A
	s_waitcnt lgkmcnt(7)                                       // 000000005D90: BF8CC77F
	v_mfma_f32_16x16x32_fp8_fp8 v[92:95], a[96:97], v[28:29], 0// 000000005D94: D3F3005C 0A023960
	v_mfma_f32_16x16x32_fp8_fp8 v[96:99], a[112:113], v[28:29], 0// 000000005D9C: D3F30060 0A023970
	v_mfma_f32_16x16x32_fp8_fp8 v[92:95], a[98:99], v[30:31], v[92:95]// 000000005DA4: D3F3005C 0D723D62
	buffer_load_dwordx4 a[64:67], v198, s[16:19], 0 offen      // 000000005DAC: E05C1000 808440C6
	v_mfma_f32_16x16x32_fp8_fp8 v[96:99], a[114:115], v[30:31], v[96:99]// 000000005DB4: D3F30060 0D823D72
	s_waitcnt lgkmcnt(6)                                       // 000000005DBC: BF8CC67F
	v_mfma_f32_16x16x32_fp8_fp8 v[92:95], a[100:101], v[32:33], v[92:95]// 000000005DC0: D3F3005C 0D724164
	v_mfma_f32_16x16x32_fp8_fp8 v[96:99], a[116:117], v[32:33], v[96:99]// 000000005DC8: D3F30060 0D824174
	v_mfma_f32_16x16x32_fp8_fp8 v[92:95], a[102:103], v[34:35], v[92:95]// 000000005DD0: D3F3005C 0D724566
	buffer_load_dwordx4 a[68:71], v199, s[16:19], 0 offen      // 000000005DD8: E05C1000 808444C7
	v_mfma_f32_16x16x32_fp8_fp8 v[96:99], a[118:119], v[34:35], v[96:99]// 000000005DE0: D3F30060 0D824576
	s_waitcnt lgkmcnt(5)                                       // 000000005DE8: BF8CC57F
	v_mfma_f32_16x16x32_fp8_fp8 v[92:95], a[104:105], v[36:37], v[92:95]// 000000005DEC: D3F3005C 0D724968
	v_mfma_f32_16x16x32_fp8_fp8 v[96:99], a[120:121], v[36:37], v[96:99]// 000000005DF4: D3F30060 0D824978
	v_mfma_f32_16x16x32_fp8_fp8 v[92:95], a[106:107], v[38:39], v[92:95]// 000000005DFC: D3F3005C 0D724D6A
	buffer_load_dwordx4 a[72:75], v200, s[16:19], 0 offen      // 000000005E04: E05C1000 808448C8
	v_mfma_f32_16x16x32_fp8_fp8 v[96:99], a[122:123], v[38:39], v[96:99]// 000000005E0C: D3F30060 0D824D7A
	s_waitcnt lgkmcnt(4)                                       // 000000005E14: BF8CC47F
	v_mfma_f32_16x16x32_fp8_fp8 v[92:95], a[108:109], v[40:41], v[92:95]// 000000005E18: D3F3005C 0D72516C
	v_mfma_f32_16x16x32_fp8_fp8 v[96:99], a[124:125], v[40:41], v[96:99]// 000000005E20: D3F30060 0D82517C
	v_mfma_f32_16x16x32_fp8_fp8 v[92:95], a[110:111], v[42:43], v[92:95]// 000000005E28: D3F3005C 0D72556E
	buffer_load_dwordx4 a[76:79], v201, s[16:19], 0 offen      // 000000005E30: E05C1000 80844CC9
	v_mfma_f32_16x16x32_fp8_fp8 v[96:99], a[126:127], v[42:43], v[96:99]// 000000005E38: D3F30060 0D82557E
	s_waitcnt lgkmcnt(3)                                       // 000000005E40: BF8CC37F
	v_mfma_f32_16x16x32_fp8_fp8 v[100:103], a[96:97], v[44:45], 0// 000000005E44: D3F30064 0A025960
	v_mfma_f32_16x16x32_fp8_fp8 v[104:107], a[112:113], v[44:45], 0// 000000005E4C: D3F30068 0A025970
	v_mfma_f32_16x16x32_fp8_fp8 v[100:103], a[98:99], v[46:47], v[100:103]// 000000005E54: D3F30064 0D925D62
	buffer_load_dwordx4 a[80:83], v198, s[16:19], 0 offen offset:1024// 000000005E5C: E05C1400 808450C6
	v_mfma_f32_16x16x32_fp8_fp8 v[104:107], a[114:115], v[46:47], v[104:107]// 000000005E64: D3F30068 0DA25D72
	s_waitcnt lgkmcnt(2)                                       // 000000005E6C: BF8CC27F
	v_mfma_f32_16x16x32_fp8_fp8 v[100:103], a[100:101], v[48:49], v[100:103]// 000000005E70: D3F30064 0D926164
	v_mfma_f32_16x16x32_fp8_fp8 v[104:107], a[116:117], v[48:49], v[104:107]// 000000005E78: D3F30068 0DA26174
	v_mfma_f32_16x16x32_fp8_fp8 v[100:103], a[102:103], v[50:51], v[100:103]// 000000005E80: D3F30064 0D926566
	buffer_load_dwordx4 a[84:87], v199, s[16:19], 0 offen offset:1024// 000000005E88: E05C1400 808454C7
	v_mfma_f32_16x16x32_fp8_fp8 v[104:107], a[118:119], v[50:51], v[104:107]// 000000005E90: D3F30068 0DA26576
	s_waitcnt lgkmcnt(1)                                       // 000000005E98: BF8CC17F
	v_mfma_f32_16x16x32_fp8_fp8 v[100:103], a[104:105], v[52:53], v[100:103]// 000000005E9C: D3F30064 0D926968
	v_mfma_f32_16x16x32_fp8_fp8 v[104:107], a[120:121], v[52:53], v[104:107]// 000000005EA4: D3F30068 0DA26978
	v_mfma_f32_16x16x32_fp8_fp8 v[100:103], a[106:107], v[54:55], v[100:103]// 000000005EAC: D3F30064 0D926D6A
	buffer_load_dwordx4 a[88:91], v200, s[16:19], 0 offen offset:1024// 000000005EB4: E05C1400 808458C8
	v_mfma_f32_16x16x32_fp8_fp8 v[104:107], a[122:123], v[54:55], v[104:107]// 000000005EBC: D3F30068 0DA26D7A
	s_waitcnt lgkmcnt(0)                                       // 000000005EC4: BF8CC07F
	v_mfma_f32_16x16x32_fp8_fp8 v[100:103], a[108:109], v[56:57], v[100:103]// 000000005EC8: D3F30064 0D92716C
	v_mfma_f32_16x16x32_fp8_fp8 v[104:107], a[124:125], v[56:57], v[104:107]// 000000005ED0: D3F30068 0DA2717C
	v_mfma_f32_16x16x32_fp8_fp8 v[100:103], a[110:111], v[58:59], v[100:103]// 000000005ED8: D3F30064 0D92756E
	buffer_load_dwordx4 a[92:95], v201, s[16:19], 0 offen offset:1024// 000000005EE0: E05C1400 80845CC9
	v_mfma_f32_16x16x32_fp8_fp8 v[104:107], a[126:127], v[58:59], v[104:107]// 000000005EE8: D3F30068 0DA2757E
	s_addk_i32 s49, 0x100                                      // 000000005EF0: B7310100
	s_branch label_0251                                        // 000000005EF4: BF82F2D3

0000000000005ef8 <label_0F7E>:
	s_cmp_lt_i32 s49, s50                                      // 000000005EF8: BF043231
	s_cbranch_scc0 label_1CAB                                  // 000000005EFC: BF840D2B
	s_waitcnt vmcnt(10)                                        // 000000005F00: BF8C0F7A
	v_mfma_f32_16x16x32_fp8_fp8 v[28:31], a[0:1], v[12:13], 0  // 000000005F04: D3F3001C 0A021900
	s_add_u32 s12, s84, s64                                    // 000000005F0C: 800C4054
	s_addc_u32 s13, s85, 0                                     // 000000005F10: 820D8055
	v_mfma_f32_16x16x32_fp8_fp8 v[28:31], a[2:3], v[14:15], v[28:31]// 000000005F14: D3F3001C 0C721D02
	s_add_u32 s16, s86, s65                                    // 000000005F1C: 80104156
	s_addc_u32 s17, s87, 0                                     // 000000005F20: 82118057
	v_mfma_f32_16x16x32_fp8_fp8 v[28:31], a[4:5], v[16:17], v[28:31]// 000000005F24: D3F3001C 0C722104
	buffer_load_dwordx4 a[32:35], v196, s[12:15], 0 offen      // 000000005F2C: E05C1000 808320C4
	v_mfma_f32_16x16x32_fp8_fp8 v[28:31], a[6:7], v[18:19], v[28:31]// 000000005F34: D3F3001C 0C722506
	s_add_u32 s28, s88, s66                                    // 000000005F3C: 801C4258
	s_addc_u32 s29, s89, 0                                     // 000000005F40: 821D8059
	v_mfma_f32_16x16x32_fp8_fp8 v[32:35], a[8:9], v[12:13], 0  // 000000005F44: D3F30020 0A021908
	s_add_u32 s32, s90, s66                                    // 000000005F4C: 8020425A
	s_addc_u32 s33, s91, 0                                     // 000000005F50: 8221805B
	v_mfma_f32_16x16x32_fp8_fp8 v[32:35], a[10:11], v[14:15], v[32:35]// 000000005F54: D3F30020 0C821D0A
	s_add_u32 s64, s64, 0x1000                                 // 000000005F5C: 8040FF40 00001000
	s_add_u32 s65, s65, 0x8000                                 // 000000005F64: 8041FF41 00008000
	v_mfma_f32_16x16x32_fp8_fp8 v[32:35], a[12:13], v[16:17], v[32:35]// 000000005F6C: D3F30020 0C82210C
	buffer_load_dwordx4 a[36:39], v197, s[12:15], 0 offen      // 000000005F74: E05C1000 808324C5
	v_mfma_f32_16x16x32_fp8_fp8 v[32:35], a[14:15], v[18:19], v[32:35]// 000000005F7C: D3F30020 0C82250E
	s_add_u32 s66, s66, 0x400                                  // 000000005F84: 8042FF42 00000400
	v_mfma_f32_16x16x32_fp8_fp8 v[36:39], a[16:17], v[12:13], 0// 000000005F8C: D3F30024 0A021910
	v_mfma_f32_16x16x32_fp8_fp8 v[36:39], a[18:19], v[14:15], v[36:39]// 000000005F94: D3F30024 0C921D12
	v_mfma_f32_16x16x32_fp8_fp8 v[36:39], a[20:21], v[16:17], v[36:39]// 000000005F9C: D3F30024 0C922114
	buffer_load_dwordx4 a[40:43], v196, s[12:15], 0 offen offset:1024// 000000005FA4: E05C1400 808328C4
	v_mfma_f32_16x16x32_fp8_fp8 v[36:39], a[22:23], v[18:19], v[36:39]// 000000005FAC: D3F30024 0C922516
	v_mfma_f32_16x16x32_fp8_fp8 v[40:43], a[24:25], v[12:13], 0// 000000005FB4: D3F30028 0A021918
	v_mfma_f32_16x16x32_fp8_fp8 v[40:43], a[26:27], v[14:15], v[40:43]// 000000005FBC: D3F30028 0CA21D1A
	v_mfma_f32_16x16x32_fp8_fp8 v[40:43], a[28:29], v[16:17], v[40:43]// 000000005FC4: D3F30028 0CA2211C
	buffer_load_dwordx4 a[44:47], v197, s[12:15], 0 offen offset:1024// 000000005FCC: E05C1400 80832CC5
	v_mfma_f32_16x16x32_fp8_fp8 v[40:43], a[30:31], v[18:19], v[40:43]// 000000005FD4: D3F30028 0CA2251E
	v_mfma_f32_16x16x32_fp8_fp8 v[44:47], a[0:1], v[20:21], 0  // 000000005FDC: D3F3002C 0A022900
	v_mfma_f32_16x16x32_fp8_fp8 v[44:47], a[2:3], v[22:23], v[44:47]// 000000005FE4: D3F3002C 0CB22D02
	v_mfma_f32_16x16x32_fp8_fp8 v[44:47], a[4:5], v[24:25], v[44:47]// 000000005FEC: D3F3002C 0CB23104
	buffer_load_dwordx4 a[48:51], v196, s[12:15], 0 offen offset:2048// 000000005FF4: E05C1800 808330C4
	v_mfma_f32_16x16x32_fp8_fp8 v[44:47], a[6:7], v[26:27], v[44:47]// 000000005FFC: D3F3002C 0CB23506
	v_mfma_f32_16x16x32_fp8_fp8 v[48:51], a[8:9], v[20:21], 0  // 000000006004: D3F30030 0A022908
	v_mfma_f32_16x16x32_fp8_fp8 v[48:51], a[10:11], v[22:23], v[48:51]// 00000000600C: D3F30030 0CC22D0A
	v_mfma_f32_16x16x32_fp8_fp8 v[48:51], a[12:13], v[24:25], v[48:51]// 000000006014: D3F30030 0CC2310C
	buffer_load_dwordx4 a[52:55], v197, s[12:15], 0 offen offset:2048// 00000000601C: E05C1800 808334C5
	v_mfma_f32_16x16x32_fp8_fp8 v[48:51], a[14:15], v[26:27], v[48:51]// 000000006024: D3F30030 0CC2350E
	v_mfma_f32_16x16x32_fp8_fp8 v[52:55], a[16:17], v[20:21], 0// 00000000602C: D3F30034 0A022910
	v_mfma_f32_16x16x32_fp8_fp8 v[52:55], a[18:19], v[22:23], v[52:55]// 000000006034: D3F30034 0CD22D12
	v_mfma_f32_16x16x32_fp8_fp8 v[52:55], a[20:21], v[24:25], v[52:55]// 00000000603C: D3F30034 0CD23114
	buffer_load_dwordx4 a[56:59], v196, s[12:15], 0 offen offset:3072// 000000006044: E05C1C00 808338C4
	v_mfma_f32_16x16x32_fp8_fp8 v[52:55], a[22:23], v[26:27], v[52:55]// 00000000604C: D3F30034 0CD23516
	v_mfma_f32_16x16x32_fp8_fp8 v[56:59], a[24:25], v[20:21], 0// 000000006054: D3F30038 0A022918
	v_mfma_f32_16x16x32_fp8_fp8 v[56:59], a[26:27], v[22:23], v[56:59]// 00000000605C: D3F30038 0CE22D1A
	v_mfma_f32_16x16x32_fp8_fp8 v[56:59], a[28:29], v[24:25], v[56:59]// 000000006064: D3F30038 0CE2311C
	buffer_load_dwordx4 a[60:63], v197, s[12:15], 0 offen offset:3072// 00000000606C: E05C1C00 80833CC5
	v_mfma_f32_16x16x32_fp8_fp8 v[56:59], a[30:31], v[26:27], v[56:59]// 000000006074: D3F30038 0CE2351E
	s_waitcnt vmcnt(16)                                        // 00000000607C: BF8C4F70
	v_pk_mul_f32 v[28:29], v[124:125], v[28:29]                // 000000006080: D3B1401C 1802397C
	v_pk_mul_f32 v[30:31], v[124:125], v[30:31]                // 000000006088: D3B1401E 18023D7C
	v_mul_f32_dpp v28, v128, v28 row_newbcast:0 row_mask:0xf bank_mask:0xf// 000000006090: 0A3838FA FF015080
	v_mul_f32_dpp v29, v128, v29 row_newbcast:1 row_mask:0xf bank_mask:0xf// 000000006098: 0A3A3AFA FF015180
	v_mul_f32_dpp v30, v128, v30 row_newbcast:2 row_mask:0xf bank_mask:0xf// 0000000060A0: 0A3C3CFA FF015280
	v_mul_f32_dpp v31, v128, v31 row_newbcast:3 row_mask:0xf bank_mask:0xf// 0000000060A8: 0A3E3EFA FF015380
	v_pk_mul_f32 v[32:33], v[124:125], v[32:33]                // 0000000060B0: D3B14020 1802417C
	v_pk_mul_f32 v[34:35], v[124:125], v[34:35]                // 0000000060B8: D3B14022 1802457C
	v_mul_f32_dpp v32, v128, v32 row_newbcast:4 row_mask:0xf bank_mask:0xf// 0000000060C0: 0A4040FA FF015480
	v_mul_f32_dpp v33, v128, v33 row_newbcast:5 row_mask:0xf bank_mask:0xf// 0000000060C8: 0A4242FA FF015580
	v_mul_f32_dpp v34, v128, v34 row_newbcast:6 row_mask:0xf bank_mask:0xf// 0000000060D0: 0A4444FA FF015680
	v_mul_f32_dpp v35, v128, v35 row_newbcast:7 row_mask:0xf bank_mask:0xf// 0000000060D8: 0A4646FA FF015780
	v_pk_mul_f32 v[36:37], v[124:125], v[36:37]                // 0000000060E0: D3B14024 1802497C
	v_pk_mul_f32 v[38:39], v[124:125], v[38:39]                // 0000000060E8: D3B14026 18024D7C
	v_mul_f32_dpp v36, v128, v36 row_newbcast:8 row_mask:0xf bank_mask:0xf// 0000000060F0: 0A4848FA FF015880
	v_mul_f32_dpp v37, v128, v37 row_newbcast:9 row_mask:0xf bank_mask:0xf// 0000000060F8: 0A4A4AFA FF015980
	v_mul_f32_dpp v38, v128, v38 row_newbcast:10 row_mask:0xf bank_mask:0xf// 000000006100: 0A4C4CFA FF015A80
	v_mul_f32_dpp v39, v128, v39 row_newbcast:11 row_mask:0xf bank_mask:0xf// 000000006108: 0A4E4EFA FF015B80
	v_pk_mul_f32 v[40:41], v[124:125], v[40:41]                // 000000006110: D3B14028 1802517C
	v_pk_mul_f32 v[42:43], v[124:125], v[42:43]                // 000000006118: D3B1402A 1802557C
	v_mul_f32_dpp v40, v128, v40 row_newbcast:12 row_mask:0xf bank_mask:0xf// 000000006120: 0A5050FA FF015C80
	v_mul_f32_dpp v41, v128, v41 row_newbcast:13 row_mask:0xf bank_mask:0xf// 000000006128: 0A5252FA FF015D80
	v_mul_f32_dpp v42, v128, v42 row_newbcast:14 row_mask:0xf bank_mask:0xf// 000000006130: 0A5454FA FF015E80
	v_mul_f32_dpp v43, v128, v43 row_newbcast:15 row_mask:0xf bank_mask:0xf// 000000006138: 0A5656FA FF015F80
	v_pk_mul_f32 v[44:45], v[126:127], v[44:45]                // 000000006140: D3B1402C 1802597E
	v_pk_mul_f32 v[46:47], v[126:127], v[46:47]                // 000000006148: D3B1402E 18025D7E
	v_mul_f32_dpp v44, v128, v44 row_newbcast:0 row_mask:0xf bank_mask:0xf// 000000006150: 0A5858FA FF015080
	v_mul_f32_dpp v45, v128, v45 row_newbcast:1 row_mask:0xf bank_mask:0xf// 000000006158: 0A5A5AFA FF015180
	v_mul_f32_dpp v46, v128, v46 row_newbcast:2 row_mask:0xf bank_mask:0xf// 000000006160: 0A5C5CFA FF015280
	v_mul_f32_dpp v47, v128, v47 row_newbcast:3 row_mask:0xf bank_mask:0xf// 000000006168: 0A5E5EFA FF015380
	v_pk_mul_f32 v[48:49], v[126:127], v[48:49]                // 000000006170: D3B14030 1802617E
	v_pk_mul_f32 v[50:51], v[126:127], v[50:51]                // 000000006178: D3B14032 1802657E
	v_mul_f32_dpp v48, v128, v48 row_newbcast:4 row_mask:0xf bank_mask:0xf// 000000006180: 0A6060FA FF015480
	v_mul_f32_dpp v49, v128, v49 row_newbcast:5 row_mask:0xf bank_mask:0xf// 000000006188: 0A6262FA FF015580
	v_mul_f32_dpp v50, v128, v50 row_newbcast:6 row_mask:0xf bank_mask:0xf// 000000006190: 0A6464FA FF015680
	v_mul_f32_dpp v51, v128, v51 row_newbcast:7 row_mask:0xf bank_mask:0xf// 000000006198: 0A6666FA FF015780
	v_pk_mul_f32 v[52:53], v[126:127], v[52:53]                // 0000000061A0: D3B14034 1802697E
	v_pk_mul_f32 v[54:55], v[126:127], v[54:55]                // 0000000061A8: D3B14036 18026D7E
	v_mul_f32_dpp v52, v128, v52 row_newbcast:8 row_mask:0xf bank_mask:0xf// 0000000061B0: 0A6868FA FF015880
	v_mul_f32_dpp v53, v128, v53 row_newbcast:9 row_mask:0xf bank_mask:0xf// 0000000061B8: 0A6A6AFA FF015980
	v_mul_f32_dpp v54, v128, v54 row_newbcast:10 row_mask:0xf bank_mask:0xf// 0000000061C0: 0A6C6CFA FF015A80
	v_mul_f32_dpp v55, v128, v55 row_newbcast:11 row_mask:0xf bank_mask:0xf// 0000000061C8: 0A6E6EFA FF015B80
	v_pk_mul_f32 v[56:57], v[126:127], v[56:57]                // 0000000061D0: D3B14038 1802717E
	v_pk_mul_f32 v[58:59], v[126:127], v[58:59]                // 0000000061D8: D3B1403A 1802757E
	v_mul_f32_dpp v56, v128, v56 row_newbcast:12 row_mask:0xf bank_mask:0xf// 0000000061E0: 0A7070FA FF015C80
	v_mul_f32_dpp v57, v128, v57 row_newbcast:13 row_mask:0xf bank_mask:0xf// 0000000061E8: 0A7272FA FF015D80
	v_mul_f32_dpp v58, v128, v58 row_newbcast:14 row_mask:0xf bank_mask:0xf// 0000000061F0: 0A7474FA FF015E80
	v_mul_f32_dpp v59, v128, v59 row_newbcast:15 row_mask:0xf bank_mask:0xf// 0000000061F8: 0A7676FA FF015F80
	v_mov_b32_e32 v146, v28                                    // 000000006200: 7F24031C
	v_max3_f32 v146, v28, v29, v146                            // 000000006204: D1D30092 064A3B1C
	v_max3_f32 v146, v30, v31, v146                            // 00000000620C: D1D30092 064A3F1E
	v_max3_f32 v146, v32, v33, v146                            // 000000006214: D1D30092 064A4320
	v_max3_f32 v146, v34, v35, v146                            // 00000000621C: D1D30092 064A4722
	v_max3_f32 v146, v36, v37, v146                            // 000000006224: D1D30092 064A4B24
	v_max3_f32 v146, v38, v39, v146                            // 00000000622C: D1D30092 064A4F26
	v_max3_f32 v146, v40, v41, v146                            // 000000006234: D1D30092 064A5328
	v_max3_f32 v146, v42, v43, v146                            // 00000000623C: D1D30092 064A572A
	v_mov_b32_e32 v147, v44                                    // 000000006244: 7F26032C
	v_max3_f32 v147, v44, v45, v147                            // 000000006248: D1D30093 064E5B2C
	v_max3_f32 v147, v46, v47, v147                            // 000000006250: D1D30093 064E5F2E
	v_max3_f32 v147, v48, v49, v147                            // 000000006258: D1D30093 064E6330
	v_max3_f32 v147, v50, v51, v147                            // 000000006260: D1D30093 064E6732
	v_max3_f32 v147, v52, v53, v147                            // 000000006268: D1D30093 064E6B34
	v_max3_f32 v147, v54, v55, v147                            // 000000006270: D1D30093 064E6F36
	v_max3_f32 v147, v56, v57, v147                            // 000000006278: D1D30093 064E7338
	v_max3_f32 v147, v58, v59, v147                            // 000000006280: D1D30093 064E773A
	ds_write_b64 v210, v[146:147]                              // 000000006288: D89A0000 000092D2
	v_pk_mul_f32 v[108:109], v[140:141], v[108:109]            // 000000006290: D3B1406C 1802D98C
	v_pk_mul_f32 v[110:111], v[140:141], v[110:111]            // 000000006298: D3B1406E 1802DD8C
	v_pk_mul_f32 v[112:113], v[140:141], v[112:113]            // 0000000062A0: D3B14070 1802E18C
	v_pk_mul_f32 v[114:115], v[140:141], v[114:115]            // 0000000062A8: D3B14072 1802E58C
	v_pk_mul_f32 v[116:117], v[142:143], v[116:117]            // 0000000062B0: D3B14074 1802E98E
	v_pk_mul_f32 v[118:119], v[142:143], v[118:119]            // 0000000062B8: D3B14076 1802ED8E
	v_pk_mul_f32 v[120:121], v[142:143], v[120:121]            // 0000000062C0: D3B14078 1802F18E
	v_pk_mul_f32 v[122:123], v[142:143], v[122:123]            // 0000000062C8: D3B1407A 1802F58E
	s_waitcnt lgkmcnt(0)                                       // 0000000062D0: BF8CC07F
	s_barrier                                                  // 0000000062D4: BF8A0000
	v_pk_mul_f32 v[92:93], v[132:133], v[92:93]                // 0000000062D8: D3B1405C 1802B984
	v_pk_mul_f32 v[94:95], v[132:133], v[94:95]                // 0000000062E0: D3B1405E 1802BD84
	v_pk_mul_f32 v[96:97], v[132:133], v[96:97]                // 0000000062E8: D3B14060 1802C184
	v_pk_mul_f32 v[98:99], v[132:133], v[98:99]                // 0000000062F0: D3B14062 1802C584
	v_pk_mul_f32 v[100:101], v[134:135], v[100:101]            // 0000000062F8: D3B14064 1802C986
	v_pk_mul_f32 v[102:103], v[134:135], v[102:103]            // 000000006300: D3B14066 1802CD86
	v_pk_mul_f32 v[104:105], v[134:135], v[104:105]            // 000000006308: D3B14068 1802D186
	v_pk_mul_f32 v[106:107], v[134:135], v[106:107]            // 000000006310: D3B1406A 1802D586
	ds_read_b64 v[148:149], v211                               // 000000006318: D8EC0000 940000D3
	ds_read_b64 v[150:151], v211 offset:128                    // 000000006320: D8EC0080 960000D3
	ds_read_b64 v[152:153], v211 offset:256                    // 000000006328: D8EC0100 980000D3
	ds_read_b64 v[154:155], v211 offset:384                    // 000000006330: D8EC0180 9A0000D3
	ds_read_b64 v[156:157], v211 offset:512                    // 000000006338: D8EC0200 9C0000D3
	ds_read_b64 v[158:159], v211 offset:640                    // 000000006340: D8EC0280 9E0000D3
	ds_read_b64 v[160:161], v211 offset:768                    // 000000006348: D8EC0300 A00000D3
	ds_read_b64 v[162:163], v211 offset:896                    // 000000006350: D8EC0380 A20000D3
	ds_read_b64 v[164:165], v211 offset:1024                   // 000000006358: D8EC0400 A40000D3
	ds_read_b64 v[166:167], v211 offset:1152                   // 000000006360: D8EC0480 A60000D3
	ds_read_b64 v[168:169], v211 offset:1280                   // 000000006368: D8EC0500 A80000D3
	ds_read_b64 v[170:171], v211 offset:1408                   // 000000006370: D8EC0580 AA0000D3
	ds_read_b64 v[172:173], v211 offset:1536                   // 000000006378: D8EC0600 AC0000D3
	ds_read_b64 v[174:175], v211 offset:1664                   // 000000006380: D8EC0680 AE0000D3
	ds_read_b64 v[176:177], v211 offset:1792                   // 000000006388: D8EC0700 B00000D3
	ds_read_b64 v[178:179], v211 offset:1920                   // 000000006390: D8EC0780 B20000D3
	s_waitcnt lgkmcnt(0)                                       // 000000006398: BF8CC07F
	v_max3_f32 v146, v148, v150, v146                          // 00000000639C: D1D30092 064B2D94
	v_max3_f32 v147, v149, v151, v147                          // 0000000063A4: D1D30093 064F2F95
	v_max3_f32 v146, v152, v154, v146                          // 0000000063AC: D1D30092 064B3598
	v_max3_f32 v147, v153, v155, v147                          // 0000000063B4: D1D30093 064F3799
	v_max3_f32 v146, v156, v158, v146                          // 0000000063BC: D1D30092 064B3D9C
	v_max3_f32 v147, v157, v159, v147                          // 0000000063C4: D1D30093 064F3F9D
	v_max3_f32 v146, v160, v162, v146                          // 0000000063CC: D1D30092 064B45A0
	v_max3_f32 v147, v161, v163, v147                          // 0000000063D4: D1D30093 064F47A1
	v_max3_f32 v146, v164, v166, v146                          // 0000000063DC: D1D30092 064B4DA4
	v_max3_f32 v147, v165, v167, v147                          // 0000000063E4: D1D30093 064F4FA5
	v_max3_f32 v146, v168, v170, v146                          // 0000000063EC: D1D30092 064B55A8
	v_max3_f32 v147, v169, v171, v147                          // 0000000063F4: D1D30093 064F57A9
	v_max3_f32 v146, v172, v174, v146                          // 0000000063FC: D1D30092 064B5DAC
	v_max3_f32 v147, v173, v175, v147                          // 000000006404: D1D30093 064F5FAD
	v_max3_f32 v146, v176, v178, v146                          // 00000000640C: D1D30092 064B65B0
	v_max3_f32 v147, v177, v179, v147                          // 000000006414: D1D30093 064F67B1
	v_max_f32_e32 v138, v146, v136                             // 00000000641C: 17151192
	v_mul_f32_e64 v180, -s51, v138                             // 000000006420: D10500B4 20031433
	v_mov_b32_e32 v181, v180                                   // 000000006428: 7F6A03B4
	v_pk_fma_f32 v[28:29], v[28:29], s[68:69], v[180:181]      // 00000000642C: D3B0401C 1ED0891C
	v_pk_fma_f32 v[30:31], v[30:31], s[68:69], v[180:181]      // 000000006434: D3B0401E 1ED0891E
	v_exp_f32_e32 v28, v28                                     // 00000000643C: 7E38411C
	v_exp_f32_e32 v29, v29                                     // 000000006440: 7E3A411D
	v_exp_f32_e32 v30, v30                                     // 000000006444: 7E3C411E
	v_exp_f32_e32 v31, v31                                     // 000000006448: 7E3E411F
	v_pk_fma_f32 v[32:33], v[32:33], s[68:69], v[180:181]      // 00000000644C: D3B04020 1ED08920
	v_pk_fma_f32 v[34:35], v[34:35], s[68:69], v[180:181]      // 000000006454: D3B04022 1ED08922
	v_exp_f32_e32 v32, v32                                     // 00000000645C: 7E404120
	v_exp_f32_e32 v33, v33                                     // 000000006460: 7E424121
	v_exp_f32_e32 v34, v34                                     // 000000006464: 7E444122
	v_exp_f32_e32 v35, v35                                     // 000000006468: 7E464123
	v_pk_fma_f32 v[36:37], v[36:37], s[68:69], v[180:181]      // 00000000646C: D3B04024 1ED08924
	v_pk_fma_f32 v[38:39], v[38:39], s[68:69], v[180:181]      // 000000006474: D3B04026 1ED08926
	v_exp_f32_e32 v36, v36                                     // 00000000647C: 7E484124
	v_exp_f32_e32 v37, v37                                     // 000000006480: 7E4A4125
	v_exp_f32_e32 v38, v38                                     // 000000006484: 7E4C4126
	v_exp_f32_e32 v39, v39                                     // 000000006488: 7E4E4127
	v_pk_fma_f32 v[40:41], v[40:41], s[68:69], v[180:181]      // 00000000648C: D3B04028 1ED08928
	v_pk_fma_f32 v[42:43], v[42:43], s[68:69], v[180:181]      // 000000006494: D3B0402A 1ED0892A
	v_exp_f32_e32 v40, v40                                     // 00000000649C: 7E504128
	v_exp_f32_e32 v41, v41                                     // 0000000064A0: 7E524129
	v_exp_f32_e32 v42, v42                                     // 0000000064A4: 7E54412A
	v_exp_f32_e32 v43, v43                                     // 0000000064A8: 7E56412B
	v_max_f32_e32 v139, v147, v137                             // 0000000064AC: 17171393
	v_mul_f32_e64 v180, -s51, v139                             // 0000000064B0: D10500B4 20031633
	v_mov_b32_e32 v181, v180                                   // 0000000064B8: 7F6A03B4
	v_pk_fma_f32 v[44:45], v[44:45], s[68:69], v[180:181]      // 0000000064BC: D3B0402C 1ED0892C
	v_pk_fma_f32 v[46:47], v[46:47], s[68:69], v[180:181]      // 0000000064C4: D3B0402E 1ED0892E
	v_exp_f32_e32 v44, v44                                     // 0000000064CC: 7E58412C
	v_exp_f32_e32 v45, v45                                     // 0000000064D0: 7E5A412D
	v_exp_f32_e32 v46, v46                                     // 0000000064D4: 7E5C412E
	v_exp_f32_e32 v47, v47                                     // 0000000064D8: 7E5E412F
	v_pk_fma_f32 v[48:49], v[48:49], s[68:69], v[180:181]      // 0000000064DC: D3B04030 1ED08930
	v_pk_fma_f32 v[50:51], v[50:51], s[68:69], v[180:181]      // 0000000064E4: D3B04032 1ED08932
	v_exp_f32_e32 v48, v48                                     // 0000000064EC: 7E604130
	v_exp_f32_e32 v49, v49                                     // 0000000064F0: 7E624131
	v_exp_f32_e32 v50, v50                                     // 0000000064F4: 7E644132
	v_exp_f32_e32 v51, v51                                     // 0000000064F8: 7E664133
	v_pk_fma_f32 v[52:53], v[52:53], s[68:69], v[180:181]      // 0000000064FC: D3B04034 1ED08934
	v_pk_fma_f32 v[54:55], v[54:55], s[68:69], v[180:181]      // 000000006504: D3B04036 1ED08936
	v_exp_f32_e32 v52, v52                                     // 00000000650C: 7E684134
	v_exp_f32_e32 v53, v53                                     // 000000006510: 7E6A4135
	v_exp_f32_e32 v54, v54                                     // 000000006514: 7E6C4136
	v_exp_f32_e32 v55, v55                                     // 000000006518: 7E6E4137
	v_pk_fma_f32 v[56:57], v[56:57], s[68:69], v[180:181]      // 00000000651C: D3B04038 1ED08938
	v_pk_fma_f32 v[58:59], v[58:59], s[68:69], v[180:181]      // 000000006524: D3B0403A 1ED0893A
	v_exp_f32_e32 v56, v56                                     // 00000000652C: 7E704138
	v_exp_f32_e32 v57, v57                                     // 000000006530: 7E724139
	v_exp_f32_e32 v58, v58                                     // 000000006534: 7E74413A
	v_exp_f32_e32 v59, v59                                     // 000000006538: 7E76413B
	v_mul_f32_dpp v60, v130, v28 row_newbcast:0 row_mask:0xf bank_mask:0xf// 00000000653C: 0A7838FA FF015082
	v_mul_f32_dpp v61, v130, v29 row_newbcast:1 row_mask:0xf bank_mask:0xf// 000000006544: 0A7A3AFA FF015182
	v_mul_f32_dpp v62, v130, v30 row_newbcast:2 row_mask:0xf bank_mask:0xf// 00000000654C: 0A7C3CFA FF015282
	v_mul_f32_dpp v63, v130, v31 row_newbcast:3 row_mask:0xf bank_mask:0xf// 000000006554: 0A7E3EFA FF015382
	v_mul_f32_dpp v64, v130, v32 row_newbcast:4 row_mask:0xf bank_mask:0xf// 00000000655C: 0A8040FA FF015482
	v_mul_f32_dpp v65, v130, v33 row_newbcast:5 row_mask:0xf bank_mask:0xf// 000000006564: 0A8242FA FF015582
	v_mul_f32_dpp v66, v130, v34 row_newbcast:6 row_mask:0xf bank_mask:0xf// 00000000656C: 0A8444FA FF015682
	v_mul_f32_dpp v67, v130, v35 row_newbcast:7 row_mask:0xf bank_mask:0xf// 000000006574: 0A8646FA FF015782
	v_mul_f32_dpp v68, v130, v36 row_newbcast:8 row_mask:0xf bank_mask:0xf// 00000000657C: 0A8848FA FF015882
	v_mul_f32_dpp v69, v130, v37 row_newbcast:9 row_mask:0xf bank_mask:0xf// 000000006584: 0A8A4AFA FF015982
	v_mul_f32_dpp v70, v130, v38 row_newbcast:10 row_mask:0xf bank_mask:0xf// 00000000658C: 0A8C4CFA FF015A82
	v_mul_f32_dpp v71, v130, v39 row_newbcast:11 row_mask:0xf bank_mask:0xf// 000000006594: 0A8E4EFA FF015B82
	v_mul_f32_dpp v72, v130, v40 row_newbcast:12 row_mask:0xf bank_mask:0xf// 00000000659C: 0A9050FA FF015C82
	v_mul_f32_dpp v73, v130, v41 row_newbcast:13 row_mask:0xf bank_mask:0xf// 0000000065A4: 0A9252FA FF015D82
	v_mul_f32_dpp v74, v130, v42 row_newbcast:14 row_mask:0xf bank_mask:0xf// 0000000065AC: 0A9454FA FF015E82
	v_mul_f32_dpp v75, v130, v43 row_newbcast:15 row_mask:0xf bank_mask:0xf// 0000000065B4: 0A9656FA FF015F82
	v_mul_f32_dpp v76, v130, v44 row_newbcast:0 row_mask:0xf bank_mask:0xf// 0000000065BC: 0A9858FA FF015082
	v_mul_f32_dpp v77, v130, v45 row_newbcast:1 row_mask:0xf bank_mask:0xf// 0000000065C4: 0A9A5AFA FF015182
	v_mul_f32_dpp v78, v130, v46 row_newbcast:2 row_mask:0xf bank_mask:0xf// 0000000065CC: 0A9C5CFA FF015282
	v_mul_f32_dpp v79, v130, v47 row_newbcast:3 row_mask:0xf bank_mask:0xf// 0000000065D4: 0A9E5EFA FF015382
	v_mul_f32_dpp v80, v130, v48 row_newbcast:4 row_mask:0xf bank_mask:0xf// 0000000065DC: 0AA060FA FF015482
	v_mul_f32_dpp v81, v130, v49 row_newbcast:5 row_mask:0xf bank_mask:0xf// 0000000065E4: 0AA262FA FF015582
	v_mul_f32_dpp v82, v130, v50 row_newbcast:6 row_mask:0xf bank_mask:0xf// 0000000065EC: 0AA464FA FF015682
	v_mul_f32_dpp v83, v130, v51 row_newbcast:7 row_mask:0xf bank_mask:0xf// 0000000065F4: 0AA666FA FF015782
	v_mul_f32_dpp v84, v130, v52 row_newbcast:8 row_mask:0xf bank_mask:0xf// 0000000065FC: 0AA868FA FF015882
	v_mul_f32_dpp v85, v130, v53 row_newbcast:9 row_mask:0xf bank_mask:0xf// 000000006604: 0AAA6AFA FF015982
	v_mul_f32_dpp v86, v130, v54 row_newbcast:10 row_mask:0xf bank_mask:0xf// 00000000660C: 0AAC6CFA FF015A82
	v_mul_f32_dpp v87, v130, v55 row_newbcast:11 row_mask:0xf bank_mask:0xf// 000000006614: 0AAE6EFA FF015B82
	v_mul_f32_dpp v88, v130, v56 row_newbcast:12 row_mask:0xf bank_mask:0xf// 00000000661C: 0AB070FA FF015C82
	v_mul_f32_dpp v89, v130, v57 row_newbcast:13 row_mask:0xf bank_mask:0xf// 000000006624: 0AB272FA FF015D82
	v_mul_f32_dpp v90, v130, v58 row_newbcast:14 row_mask:0xf bank_mask:0xf// 00000000662C: 0AB474FA FF015E82
	v_mul_f32_dpp v91, v130, v59 row_newbcast:15 row_mask:0xf bank_mask:0xf// 000000006634: 0AB676FA FF015F82
	v_mov_b32_e32 v146, 0x358637bd                             // 00000000663C: 7F2402FF 358637BD
	v_max3_f32 v146, |v60|, |v61|, v146                        // 000000006644: D1D30392 064A7B3C
	v_max3_f32 v146, |v62|, |v63|, v146                        // 00000000664C: D1D30392 064A7F3E
	v_max3_f32 v146, |v64|, |v65|, v146                        // 000000006654: D1D30392 064A8340
	v_max3_f32 v146, |v66|, |v67|, v146                        // 00000000665C: D1D30392 064A8742
	v_max3_f32 v146, |v68|, |v69|, v146                        // 000000006664: D1D30392 064A8B44
	v_max3_f32 v146, |v70|, |v71|, v146                        // 00000000666C: D1D30392 064A8F46
	v_max3_f32 v146, |v72|, |v73|, v146                        // 000000006674: D1D30392 064A9348
	v_max3_f32 v146, |v74|, |v75|, v146                        // 00000000667C: D1D30392 064A974A
	v_mov_b32_e32 v147, 0x358637bd                             // 000000006684: 7F2602FF 358637BD
	v_max3_f32 v147, |v76|, |v77|, v147                        // 00000000668C: D1D30393 064E9B4C
	v_max3_f32 v147, |v78|, |v79|, v147                        // 000000006694: D1D30393 064E9F4E
	v_max3_f32 v147, |v80|, |v81|, v147                        // 00000000669C: D1D30393 064EA350
	v_max3_f32 v147, |v82|, |v83|, v147                        // 0000000066A4: D1D30393 064EA752
	v_max3_f32 v147, |v84|, |v85|, v147                        // 0000000066AC: D1D30393 064EAB54
	v_max3_f32 v147, |v86|, |v87|, v147                        // 0000000066B4: D1D30393 064EAF56
	v_max3_f32 v147, |v88|, |v89|, v147                        // 0000000066BC: D1D30393 064EB358
	v_max3_f32 v147, |v90|, |v91|, v147                        // 0000000066C4: D1D30393 064EB75A
	ds_write_b64 v210, v[146:147] offset:2304                  // 0000000066CC: D89A0900 000092D2
	buffer_load_dword v129, v202, s[28:31], 0 offen            // 0000000066D4: E0501000 800781CA
	v_sub_f32_e32 v140, v136, v138                             // 0000000066DC: 05191588
	v_cmp_eq_u32_e64 s[92:93], v191, v136                      // 0000000066E0: D0CA005C 000311BF
	s_nop 0                                                    // 0000000066E8: BF800000
	v_cndmask_b32_e64 v140, v140, 0, s[92:93]                  // 0000000066EC: D100008C 0171018C
	v_mov_b32_e32 v136, v138                                   // 0000000066F4: 7F10038A
	v_mul_f32_e32 v140, s51, v140                              // 0000000066F8: 0B191833
	v_exp_f32_e32 v140, v140                                   // 0000000066FC: 7F18418C
	v_sub_f32_e32 v142, v137, v139                             // 000000006700: 051D1789
	v_cmp_eq_u32_e64 s[92:93], v191, v137                      // 000000006704: D0CA005C 000313BF
	s_nop 0                                                    // 00000000670C: BF800000
	v_cndmask_b32_e64 v142, v142, 0, s[92:93]                  // 000000006710: D100008E 0171018E
	v_mov_b32_e32 v137, v139                                   // 000000006718: 7F12038B
	v_mul_f32_e32 v142, s51, v142                              // 00000000671C: 0B1D1C33
	v_exp_f32_e32 v142, v142                                   // 000000006720: 7F1C418E
	v_mov_b32_e32 v141, v140                                   // 000000006724: 7F1A038C
	v_mov_b32_e32 v143, v142                                   // 000000006728: 7F1E038E
	buffer_load_dword v131, v203, s[32:35], 0 offen            // 00000000672C: E0501000 800883CB
	s_waitcnt lgkmcnt(0)                                       // 000000006734: BF8CC07F
	s_barrier                                                  // 000000006738: BF8A0000
	v_mul_f32_e32 v144, v140, v144                             // 00000000673C: 0B21218C
	v_add_f32_e32 v144, v28, v144                              // 000000006740: 0321211C
	v_add_f32_e32 v144, v29, v144                              // 000000006744: 0321211D
	v_add_f32_e32 v144, v30, v144                              // 000000006748: 0321211E
	v_add_f32_e32 v144, v31, v144                              // 00000000674C: 0321211F
	v_add_f32_e32 v144, v32, v144                              // 000000006750: 03212120
	v_add_f32_e32 v144, v33, v144                              // 000000006754: 03212121
	;; [unrolled: 1-line block ×3, first 2 shown]
	v_add_f32_e32 v144, v35, v144                              // 00000000675C: 03212123
	v_add_f32_e32 v144, v36, v144                              // 000000006760: 03212124
	v_add_f32_e32 v144, v37, v144                              // 000000006764: 03212125
	;; [unrolled: 1-line block ×3, first 2 shown]
	v_add_f32_e32 v144, v39, v144                              // 00000000676C: 03212127
	v_add_f32_e32 v144, v40, v144                              // 000000006770: 03212128
	v_add_f32_e32 v144, v41, v144                              // 000000006774: 03212129
	v_add_f32_e32 v144, v42, v144                              // 000000006778: 0321212A
	v_add_f32_e32 v144, v43, v144                              // 00000000677C: 0321212B
	v_mul_f32_e32 v145, v142, v145                             // 000000006780: 0B23238E
	v_add_f32_e32 v145, v44, v145                              // 000000006784: 0323232C
	v_add_f32_e32 v145, v45, v145                              // 000000006788: 0323232D
	v_add_f32_e32 v145, v46, v145                              // 00000000678C: 0323232E
	v_add_f32_e32 v145, v47, v145                              // 000000006790: 0323232F
	v_add_f32_e32 v145, v48, v145                              // 000000006794: 03232330
	v_add_f32_e32 v145, v49, v145                              // 000000006798: 03232331
	v_add_f32_e32 v145, v50, v145                              // 00000000679C: 03232332
	v_add_f32_e32 v145, v51, v145                              // 0000000067A0: 03232333
	v_add_f32_e32 v145, v52, v145                              // 0000000067A4: 03232334
	v_add_f32_e32 v145, v53, v145                              // 0000000067A8: 03232335
	v_add_f32_e32 v145, v54, v145                              // 0000000067AC: 03232336
	v_add_f32_e32 v145, v55, v145                              // 0000000067B0: 03232337
	v_add_f32_e32 v145, v56, v145                              // 0000000067B4: 03232338
	v_add_f32_e32 v145, v57, v145                              // 0000000067B8: 03232339
	v_add_f32_e32 v145, v58, v145                              // 0000000067BC: 0323233A
	v_add_f32_e32 v145, v59, v145                              // 0000000067C0: 0323233B
	ds_read_b64 v[148:149], v211 offset:2304                   // 0000000067C4: D8EC0900 940000D3
	ds_read_b64 v[150:151], v211 offset:2432                   // 0000000067CC: D8EC0980 960000D3
	ds_read_b64 v[152:153], v211 offset:2560                   // 0000000067D4: D8EC0A00 980000D3
	ds_read_b64 v[154:155], v211 offset:2688                   // 0000000067DC: D8EC0A80 9A0000D3
	ds_read_b64 v[156:157], v211 offset:2816                   // 0000000067E4: D8EC0B00 9C0000D3
	ds_read_b64 v[158:159], v211 offset:2944                   // 0000000067EC: D8EC0B80 9E0000D3
	ds_read_b64 v[160:161], v211 offset:3072                   // 0000000067F4: D8EC0C00 A00000D3
	ds_read_b64 v[162:163], v211 offset:3200                   // 0000000067FC: D8EC0C80 A20000D3
	ds_read_b64 v[164:165], v211 offset:3328                   // 000000006804: D8EC0D00 A40000D3
	ds_read_b64 v[166:167], v211 offset:3456                   // 00000000680C: D8EC0D80 A60000D3
	ds_read_b64 v[168:169], v211 offset:3584                   // 000000006814: D8EC0E00 A80000D3
	ds_read_b64 v[170:171], v211 offset:3712                   // 00000000681C: D8EC0E80 AA0000D3
	ds_read_b64 v[172:173], v211 offset:3840                   // 000000006824: D8EC0F00 AC0000D3
	ds_read_b64 v[174:175], v211 offset:3968                   // 00000000682C: D8EC0F80 AE0000D3
	ds_read_b64 v[176:177], v211 offset:4096                   // 000000006834: D8EC1000 B00000D3
	ds_read_b64 v[178:179], v211 offset:4224                   // 00000000683C: D8EC1080 B20000D3
	s_waitcnt lgkmcnt(0)                                       // 000000006844: BF8CC07F
	v_max3_f32 v146, v148, v150, v146                          // 000000006848: D1D30092 064B2D94
	v_max3_f32 v147, v149, v151, v147                          // 000000006850: D1D30093 064F2F95
	v_max3_f32 v146, v152, v154, v146                          // 000000006858: D1D30092 064B3598
	v_max3_f32 v147, v153, v155, v147                          // 000000006860: D1D30093 064F3799
	v_max3_f32 v146, v156, v158, v146                          // 000000006868: D1D30092 064B3D9C
	v_max3_f32 v147, v157, v159, v147                          // 000000006870: D1D30093 064F3F9D
	v_max3_f32 v146, v160, v162, v146                          // 000000006878: D1D30092 064B45A0
	v_max3_f32 v147, v161, v163, v147                          // 000000006880: D1D30093 064F47A1
	v_max3_f32 v146, v164, v166, v146                          // 000000006888: D1D30092 064B4DA4
	v_max3_f32 v147, v165, v167, v147                          // 000000006890: D1D30093 064F4FA5
	v_max3_f32 v146, v168, v170, v146                          // 000000006898: D1D30092 064B55A8
	v_max3_f32 v147, v169, v171, v147                          // 0000000068A0: D1D30093 064F57A9
	v_max3_f32 v146, v172, v174, v146                          // 0000000068A8: D1D30092 064B5DAC
	v_max3_f32 v147, v173, v175, v147                          // 0000000068B0: D1D30093 064F5FAD
	v_max3_f32 v146, v176, v178, v146                          // 0000000068B8: D1D30092 064B65B0
	v_max3_f32 v147, v177, v179, v147                          // 0000000068C0: D1D30093 064F67B1
	v_rcp_f32_e32 v146, v146                                   // 0000000068C8: 7F244592
	v_rcp_f32_e32 v147, v147                                   // 0000000068CC: 7F264593
	v_mul_f32_e32 v146, 0x43700000, v146                       // 0000000068D0: 0B2524FF 43700000
	v_mul_f32_e32 v147, 0x43700000, v147                       // 0000000068D8: 0B2726FF 43700000
	v_mul_f32_e32 v28, v146, v60                               // 0000000068E0: 0A387992
	v_mul_f32_e32 v29, v146, v61                               // 0000000068E4: 0A3A7B92
	v_mul_f32_e32 v30, v146, v62                               // 0000000068E8: 0A3C7D92
	v_mul_f32_e32 v31, v146, v63                               // 0000000068EC: 0A3E7F92
	v_mul_f32_e32 v32, v146, v64                               // 0000000068F0: 0A408192
	v_mul_f32_e32 v33, v146, v65                               // 0000000068F4: 0A428392
	v_mul_f32_e32 v34, v146, v66                               // 0000000068F8: 0A448592
	v_mul_f32_e32 v35, v146, v67                               // 0000000068FC: 0A468792
	v_mul_f32_e32 v36, v146, v68                               // 000000006900: 0A488992
	v_mul_f32_e32 v37, v146, v69                               // 000000006904: 0A4A8B92
	v_mul_f32_e32 v38, v146, v70                               // 000000006908: 0A4C8D92
	v_mul_f32_e32 v39, v146, v71                               // 00000000690C: 0A4E8F92
	v_mul_f32_e32 v40, v146, v72                               // 000000006910: 0A509192
	v_mul_f32_e32 v41, v146, v73                               // 000000006914: 0A529392
	v_mul_f32_e32 v42, v146, v74                               // 000000006918: 0A549592
	v_mul_f32_e32 v43, v146, v75                               // 00000000691C: 0A569792
	v_mul_f32_e32 v44, v147, v76                               // 000000006920: 0A589993
	v_mul_f32_e32 v45, v147, v77                               // 000000006924: 0A5A9B93
	v_mul_f32_e32 v46, v147, v78                               // 000000006928: 0A5C9D93
	v_mul_f32_e32 v47, v147, v79                               // 00000000692C: 0A5E9F93
	v_mul_f32_e32 v48, v147, v80                               // 000000006930: 0A60A193
	v_mul_f32_e32 v49, v147, v81                               // 000000006934: 0A62A393
	v_mul_f32_e32 v50, v147, v82                               // 000000006938: 0A64A593
	v_mul_f32_e32 v51, v147, v83                               // 00000000693C: 0A66A793
	v_mul_f32_e32 v52, v147, v84                               // 000000006940: 0A68A993
	v_mul_f32_e32 v53, v147, v85                               // 000000006944: 0A6AAB93
	v_mul_f32_e32 v54, v147, v86                               // 000000006948: 0A6CAD93
	v_mul_f32_e32 v55, v147, v87                               // 00000000694C: 0A6EAF93
	v_mul_f32_e32 v56, v147, v88                               // 000000006950: 0A70B193
	v_mul_f32_e32 v57, v147, v89                               // 000000006954: 0A72B393
	v_mul_f32_e32 v58, v147, v90                               // 000000006958: 0A74B593
	v_mul_f32_e32 v59, v147, v91                               // 00000000695C: 0A76B793
	v_cvt_pk_fp8_f32 v28, v28, v29                             // 000000006960: D2A2001C 00023B1C
	v_cvt_pk_fp8_f32 v28, v30, v31 op_sel:[0,0,1]              // 000000006968: D2A2401C 00023F1E
	v_cvt_pk_fp8_f32 v29, v32, v33                             // 000000006970: D2A2001D 00024320
	v_cvt_pk_fp8_f32 v29, v34, v35 op_sel:[0,0,1]              // 000000006978: D2A2401D 00024722
	v_cvt_pk_fp8_f32 v30, v36, v37                             // 000000006980: D2A2001E 00024B24
	v_cvt_pk_fp8_f32 v30, v38, v39 op_sel:[0,0,1]              // 000000006988: D2A2401E 00024F26
	v_cvt_pk_fp8_f32 v31, v40, v41                             // 000000006990: D2A2001F 00025328
	v_cvt_pk_fp8_f32 v31, v42, v43 op_sel:[0,0,1]              // 000000006998: D2A2401F 0002572A
	v_cvt_pk_fp8_f32 v32, v44, v45                             // 0000000069A0: D2A20020 00025B2C
	v_cvt_pk_fp8_f32 v32, v46, v47 op_sel:[0,0,1]              // 0000000069A8: D2A24020 00025F2E
	v_cvt_pk_fp8_f32 v33, v48, v49                             // 0000000069B0: D2A20021 00026330
	v_cvt_pk_fp8_f32 v33, v50, v51 op_sel:[0,0,1]              // 0000000069B8: D2A24021 00026732
	v_cvt_pk_fp8_f32 v34, v52, v53                             // 0000000069C0: D2A20022 00026B34
	v_cvt_pk_fp8_f32 v34, v54, v55 op_sel:[0,0,1]              // 0000000069C8: D2A24022 00026F36
	v_cvt_pk_fp8_f32 v35, v56, v57                             // 0000000069D0: D2A20023 00027338
	v_cvt_pk_fp8_f32 v35, v58, v59 op_sel:[0,0,1]              // 0000000069D8: D2A24023 0002773A
	ds_write_b32 v212, v28 offset:4608                         // 0000000069E0: D81A1200 00001CD4
	ds_write_b32 v212, v29 offset:5632                         // 0000000069E8: D81A1600 00001DD4
	ds_write_b32 v212, v30 offset:6656                         // 0000000069F0: D81A1A00 00001ED4
	ds_write_b32 v212, v31 offset:7680                         // 0000000069F8: D81A1E00 00001FD4
	ds_write_b32 v212, v32 offset:8704                         // 000000006A00: D81A2200 000020D4
	ds_write_b32 v212, v33 offset:9728                         // 000000006A08: D81A2600 000021D4
	ds_write_b32 v212, v34 offset:10752                        // 000000006A10: D81A2A00 000022D4
	ds_write_b32 v212, v35 offset:11776                        // 000000006A18: D81A2E00 000023D4
	v_rcp_f32_e32 v132, v146                                   // 000000006A20: 7F084592
	v_rcp_f32_e32 v134, v147                                   // 000000006A24: 7F0C4593
	v_mov_b32_e32 v133, v132                                   // 000000006A28: 7F0A0384
	v_mov_b32_e32 v135, v134                                   // 000000006A2C: 7F0E0386
	v_pk_add_f32 v[108:109], v[108:109], v[92:93]              // 000000006A30: D3B2406C 1802B96C
	v_pk_add_f32 v[110:111], v[110:111], v[94:95]              // 000000006A38: D3B2406E 1802BD6E
	v_pk_add_f32 v[112:113], v[112:113], v[96:97]              // 000000006A40: D3B24070 1802C170
	v_pk_add_f32 v[114:115], v[114:115], v[98:99]              // 000000006A48: D3B24072 1802C572
	v_pk_add_f32 v[116:117], v[116:117], v[100:101]            // 000000006A50: D3B24074 1802C974
	v_pk_add_f32 v[118:119], v[118:119], v[102:103]            // 000000006A58: D3B24076 1802CD76
	v_pk_add_f32 v[120:121], v[120:121], v[104:105]            // 000000006A60: D3B24078 1802D178
	v_pk_add_f32 v[122:123], v[122:123], v[106:107]            // 000000006A68: D3B2407A 1802D57A
	s_waitcnt lgkmcnt(0)                                       // 000000006A70: BF8CC07F
	s_barrier                                                  // 000000006A74: BF8A0000
	ds_read_b128 v[28:31], v213 offset:4608                    // 000000006A78: D9FE1200 1C0000D5
	ds_read_b128 v[32:35], v213 offset:5632                    // 000000006A80: D9FE1600 200000D5
	ds_read_b128 v[36:39], v213 offset:6656                    // 000000006A88: D9FE1A00 240000D5
	ds_read_b128 v[40:43], v213 offset:7680                    // 000000006A90: D9FE1E00 280000D5
	ds_read_b128 v[44:47], v213 offset:8704                    // 000000006A98: D9FE2200 2C0000D5
	ds_read_b128 v[48:51], v213 offset:9728                    // 000000006AA0: D9FE2600 300000D5
	ds_read_b128 v[52:55], v213 offset:10752                   // 000000006AA8: D9FE2A00 340000D5
	ds_read_b128 v[56:59], v213 offset:11776                   // 000000006AB0: D9FE2E00 380000D5
	s_waitcnt vmcnt(10)                                        // 000000006AB8: BF8C0F7A
	s_waitcnt lgkmcnt(7)                                       // 000000006ABC: BF8CC77F
	v_mfma_f32_16x16x32_fp8_fp8 v[92:95], a[64:65], v[28:29], 0// 000000006AC0: D3F3005C 0A023940
	s_addk_i32 s62, 0x1                                        // 000000006AC8: B73E0001
	v_mfma_f32_16x16x32_fp8_fp8 v[96:99], a[80:81], v[28:29], 0// 000000006ACC: D3F30060 0A023950
	s_cmp_lt_u32 s62, s52                                      // 000000006AD4: BF0A343E
	s_cselect_b32 s63, 4, 0                                    // 000000006AD8: 853F8084
	v_mfma_f32_16x16x32_fp8_fp8 v[92:95], a[66:67], v[30:31], v[92:95]// 000000006ADC: D3F3005C 0D723D42
	buffer_load_dwordx4 a[96:99], v198, s[16:19], 0 offen      // 000000006AE4: E05C1000 808460C6
	v_mfma_f32_16x16x32_fp8_fp8 v[96:99], a[82:83], v[30:31], v[96:99]// 000000006AEC: D3F30060 0D823D52
	s_add_u32 s20, s20, s63                                    // 000000006AF4: 80143F14
	s_addc_u32 s21, s21, 0                                     // 000000006AF8: 82158015
	s_waitcnt lgkmcnt(6)                                       // 000000006AFC: BF8CC67F
	v_mfma_f32_16x16x32_fp8_fp8 v[92:95], a[68:69], v[32:33], v[92:95]// 000000006B00: D3F3005C 0D724144
	v_mfma_f32_16x16x32_fp8_fp8 v[96:99], a[84:85], v[32:33], v[96:99]// 000000006B08: D3F30060 0D824154
	v_mfma_f32_16x16x32_fp8_fp8 v[92:95], a[70:71], v[34:35], v[92:95]// 000000006B10: D3F3005C 0D724546
	buffer_load_dwordx4 a[100:103], v199, s[16:19], 0 offen    // 000000006B18: E05C1000 808464C7
	v_mfma_f32_16x16x32_fp8_fp8 v[96:99], a[86:87], v[34:35], v[96:99]// 000000006B20: D3F30060 0D824556
	s_waitcnt lgkmcnt(5)                                       // 000000006B28: BF8CC57F
	v_mfma_f32_16x16x32_fp8_fp8 v[92:95], a[72:73], v[36:37], v[92:95]// 000000006B2C: D3F3005C 0D724948
	v_mfma_f32_16x16x32_fp8_fp8 v[96:99], a[88:89], v[36:37], v[96:99]// 000000006B34: D3F30060 0D824958
	v_mfma_f32_16x16x32_fp8_fp8 v[92:95], a[74:75], v[38:39], v[92:95]// 000000006B3C: D3F3005C 0D724D4A
	buffer_load_dwordx4 a[104:107], v200, s[16:19], 0 offen    // 000000006B44: E05C1000 808468C8
	v_mfma_f32_16x16x32_fp8_fp8 v[96:99], a[90:91], v[38:39], v[96:99]// 000000006B4C: D3F30060 0D824D5A
	s_waitcnt lgkmcnt(4)                                       // 000000006B54: BF8CC47F
	v_mfma_f32_16x16x32_fp8_fp8 v[92:95], a[76:77], v[40:41], v[92:95]// 000000006B58: D3F3005C 0D72514C
	v_mfma_f32_16x16x32_fp8_fp8 v[96:99], a[92:93], v[40:41], v[96:99]// 000000006B60: D3F30060 0D82515C
	v_mfma_f32_16x16x32_fp8_fp8 v[92:95], a[78:79], v[42:43], v[92:95]// 000000006B68: D3F3005C 0D72554E
	buffer_load_dwordx4 a[108:111], v201, s[16:19], 0 offen    // 000000006B70: E05C1000 80846CC9
	v_mfma_f32_16x16x32_fp8_fp8 v[96:99], a[94:95], v[42:43], v[96:99]// 000000006B78: D3F30060 0D82555E
	s_waitcnt lgkmcnt(3)                                       // 000000006B80: BF8CC37F
	v_mfma_f32_16x16x32_fp8_fp8 v[100:103], a[64:65], v[44:45], 0// 000000006B84: D3F30064 0A025940
	v_mfma_f32_16x16x32_fp8_fp8 v[104:107], a[80:81], v[44:45], 0// 000000006B8C: D3F30068 0A025950
	v_mfma_f32_16x16x32_fp8_fp8 v[100:103], a[66:67], v[46:47], v[100:103]// 000000006B94: D3F30064 0D925D42
	buffer_load_dwordx4 a[112:115], v198, s[16:19], 0 offen offset:1024// 000000006B9C: E05C1400 808470C6
	v_mfma_f32_16x16x32_fp8_fp8 v[104:107], a[82:83], v[46:47], v[104:107]// 000000006BA4: D3F30068 0DA25D52
	s_waitcnt lgkmcnt(2)                                       // 000000006BAC: BF8CC27F
	v_mfma_f32_16x16x32_fp8_fp8 v[100:103], a[68:69], v[48:49], v[100:103]// 000000006BB0: D3F30064 0D926144
	v_mfma_f32_16x16x32_fp8_fp8 v[104:107], a[84:85], v[48:49], v[104:107]// 000000006BB8: D3F30068 0DA26154
	v_mfma_f32_16x16x32_fp8_fp8 v[100:103], a[70:71], v[50:51], v[100:103]// 000000006BC0: D3F30064 0D926546
	buffer_load_dwordx4 a[116:119], v199, s[16:19], 0 offen offset:1024// 000000006BC8: E05C1400 808474C7
	v_mfma_f32_16x16x32_fp8_fp8 v[104:107], a[86:87], v[50:51], v[104:107]// 000000006BD0: D3F30068 0DA26556
	s_waitcnt lgkmcnt(1)                                       // 000000006BD8: BF8CC17F
	v_mfma_f32_16x16x32_fp8_fp8 v[100:103], a[72:73], v[52:53], v[100:103]// 000000006BDC: D3F30064 0D926948
	v_mfma_f32_16x16x32_fp8_fp8 v[104:107], a[88:89], v[52:53], v[104:107]// 000000006BE4: D3F30068 0DA26958
	v_mfma_f32_16x16x32_fp8_fp8 v[100:103], a[74:75], v[54:55], v[100:103]// 000000006BEC: D3F30064 0D926D4A
	buffer_load_dwordx4 a[120:123], v200, s[16:19], 0 offen offset:1024// 000000006BF4: E05C1400 808478C8
	v_mfma_f32_16x16x32_fp8_fp8 v[104:107], a[90:91], v[54:55], v[104:107]// 000000006BFC: D3F30068 0DA26D5A
	s_waitcnt lgkmcnt(0)                                       // 000000006C04: BF8CC07F
	v_mfma_f32_16x16x32_fp8_fp8 v[100:103], a[76:77], v[56:57], v[100:103]// 000000006C08: D3F30064 0D92714C
	v_mfma_f32_16x16x32_fp8_fp8 v[104:107], a[92:93], v[56:57], v[104:107]// 000000006C10: D3F30068 0DA2715C
	v_mfma_f32_16x16x32_fp8_fp8 v[100:103], a[78:79], v[58:59], v[100:103]// 000000006C18: D3F30064 0D92754E
	buffer_load_dwordx4 a[124:127], v201, s[16:19], 0 offen offset:1024// 000000006C20: E05C1400 80847CC9
	v_mfma_f32_16x16x32_fp8_fp8 v[104:107], a[94:95], v[58:59], v[104:107]// 000000006C28: D3F30068 0DA2755E
	s_load_dword s61, s[20:21], 0x0                            // 000000006C30: C0020F4A 00000000
	s_addk_i32 s49, 0x100                                      // 000000006C38: B7310100
	s_cmp_lt_i32 s49, s50                                      // 000000006C3C: BF043231
	s_cbranch_scc0 label_20D4                                  // 000000006C40: BF840E03
	s_waitcnt vmcnt(10)                                        // 000000006C44: BF8C0F7A
	v_mfma_f32_16x16x32_fp8_fp8 v[28:31], a[32:33], v[12:13], 0// 000000006C48: D3F3001C 0A021920
	s_add_u32 s12, s84, s64                                    // 000000006C50: 800C4054
	s_addc_u32 s13, s85, 0                                     // 000000006C54: 820D8055
	v_mfma_f32_16x16x32_fp8_fp8 v[28:31], a[34:35], v[14:15], v[28:31]// 000000006C58: D3F3001C 0C721D22
	s_add_u32 s16, s86, s65                                    // 000000006C60: 80104156
	s_addc_u32 s17, s87, 0                                     // 000000006C64: 82118057
	v_mfma_f32_16x16x32_fp8_fp8 v[28:31], a[36:37], v[16:17], v[28:31]// 000000006C68: D3F3001C 0C722124
	buffer_load_dwordx4 a[0:3], v196, s[12:15], 0 offen        // 000000006C70: E05C1000 808300C4
	v_mfma_f32_16x16x32_fp8_fp8 v[28:31], a[38:39], v[18:19], v[28:31]// 000000006C78: D3F3001C 0C722526
	s_add_u32 s28, s88, s66                                    // 000000006C80: 801C4258
	s_addc_u32 s29, s89, 0                                     // 000000006C84: 821D8059
	v_mfma_f32_16x16x32_fp8_fp8 v[32:35], a[40:41], v[12:13], 0// 000000006C88: D3F30020 0A021928
	s_add_u32 s32, s90, s66                                    // 000000006C90: 8020425A
	s_addc_u32 s33, s91, 0                                     // 000000006C94: 8221805B
	v_mfma_f32_16x16x32_fp8_fp8 v[32:35], a[42:43], v[14:15], v[32:35]// 000000006C98: D3F30020 0C821D2A
	s_add_u32 s64, s64, 0x1000                                 // 000000006CA0: 8040FF40 00001000
	s_add_u32 s65, s65, 0x8000                                 // 000000006CA8: 8041FF41 00008000
	v_mfma_f32_16x16x32_fp8_fp8 v[32:35], a[44:45], v[16:17], v[32:35]// 000000006CB0: D3F30020 0C82212C
	buffer_load_dwordx4 a[4:7], v197, s[12:15], 0 offen        // 000000006CB8: E05C1000 808304C5
	v_mfma_f32_16x16x32_fp8_fp8 v[32:35], a[46:47], v[18:19], v[32:35]// 000000006CC0: D3F30020 0C82252E
	s_add_u32 s66, s66, 0x400                                  // 000000006CC8: 8042FF42 00000400
	v_mfma_f32_16x16x32_fp8_fp8 v[36:39], a[48:49], v[12:13], 0// 000000006CD0: D3F30024 0A021930
	v_mfma_f32_16x16x32_fp8_fp8 v[36:39], a[50:51], v[14:15], v[36:39]// 000000006CD8: D3F30024 0C921D32
	v_mfma_f32_16x16x32_fp8_fp8 v[36:39], a[52:53], v[16:17], v[36:39]// 000000006CE0: D3F30024 0C922134
	buffer_load_dwordx4 a[8:11], v196, s[12:15], 0 offen offset:1024// 000000006CE8: E05C1400 808308C4
	v_mfma_f32_16x16x32_fp8_fp8 v[36:39], a[54:55], v[18:19], v[36:39]// 000000006CF0: D3F30024 0C922536
	v_mfma_f32_16x16x32_fp8_fp8 v[40:43], a[56:57], v[12:13], 0// 000000006CF8: D3F30028 0A021938
	v_mfma_f32_16x16x32_fp8_fp8 v[40:43], a[58:59], v[14:15], v[40:43]// 000000006D00: D3F30028 0CA21D3A
	v_mfma_f32_16x16x32_fp8_fp8 v[40:43], a[60:61], v[16:17], v[40:43]// 000000006D08: D3F30028 0CA2213C
	buffer_load_dwordx4 a[12:15], v197, s[12:15], 0 offen offset:1024// 000000006D10: E05C1400 80830CC5
	v_mfma_f32_16x16x32_fp8_fp8 v[40:43], a[62:63], v[18:19], v[40:43]// 000000006D18: D3F30028 0CA2253E
	v_mfma_f32_16x16x32_fp8_fp8 v[44:47], a[32:33], v[20:21], 0// 000000006D20: D3F3002C 0A022920
	v_mfma_f32_16x16x32_fp8_fp8 v[44:47], a[34:35], v[22:23], v[44:47]// 000000006D28: D3F3002C 0CB22D22
	v_mfma_f32_16x16x32_fp8_fp8 v[44:47], a[36:37], v[24:25], v[44:47]// 000000006D30: D3F3002C 0CB23124
	buffer_load_dwordx4 a[16:19], v196, s[12:15], 0 offen offset:2048// 000000006D38: E05C1800 808310C4
	v_mfma_f32_16x16x32_fp8_fp8 v[44:47], a[38:39], v[26:27], v[44:47]// 000000006D40: D3F3002C 0CB23526
	v_mfma_f32_16x16x32_fp8_fp8 v[48:51], a[40:41], v[20:21], 0// 000000006D48: D3F30030 0A022928
	v_mfma_f32_16x16x32_fp8_fp8 v[48:51], a[42:43], v[22:23], v[48:51]// 000000006D50: D3F30030 0CC22D2A
	v_mfma_f32_16x16x32_fp8_fp8 v[48:51], a[44:45], v[24:25], v[48:51]// 000000006D58: D3F30030 0CC2312C
	buffer_load_dwordx4 a[20:23], v197, s[12:15], 0 offen offset:2048// 000000006D60: E05C1800 808314C5
	v_mfma_f32_16x16x32_fp8_fp8 v[48:51], a[46:47], v[26:27], v[48:51]// 000000006D68: D3F30030 0CC2352E
	v_mfma_f32_16x16x32_fp8_fp8 v[52:55], a[48:49], v[20:21], 0// 000000006D70: D3F30034 0A022930
	v_mfma_f32_16x16x32_fp8_fp8 v[52:55], a[50:51], v[22:23], v[52:55]// 000000006D78: D3F30034 0CD22D32
	v_mfma_f32_16x16x32_fp8_fp8 v[52:55], a[52:53], v[24:25], v[52:55]// 000000006D80: D3F30034 0CD23134
	buffer_load_dwordx4 a[24:27], v196, s[12:15], 0 offen offset:3072// 000000006D88: E05C1C00 808318C4
	v_mfma_f32_16x16x32_fp8_fp8 v[52:55], a[54:55], v[26:27], v[52:55]// 000000006D90: D3F30034 0CD23536
	v_mfma_f32_16x16x32_fp8_fp8 v[56:59], a[56:57], v[20:21], 0// 000000006D98: D3F30038 0A022938
	v_mfma_f32_16x16x32_fp8_fp8 v[56:59], a[58:59], v[22:23], v[56:59]// 000000006DA0: D3F30038 0CE22D3A
	v_mfma_f32_16x16x32_fp8_fp8 v[56:59], a[60:61], v[24:25], v[56:59]// 000000006DA8: D3F30038 0CE2313C
	buffer_load_dwordx4 a[28:31], v197, s[12:15], 0 offen offset:3072// 000000006DB0: E05C1C00 80831CC5
	v_mfma_f32_16x16x32_fp8_fp8 v[56:59], a[62:63], v[26:27], v[56:59]// 000000006DB8: D3F30038 0CE2353E
	s_waitcnt vmcnt(16)                                        // 000000006DC0: BF8C4F70
	v_pk_mul_f32 v[28:29], v[124:125], v[28:29]                // 000000006DC4: D3B1401C 1802397C
	v_pk_mul_f32 v[30:31], v[124:125], v[30:31]                // 000000006DCC: D3B1401E 18023D7C
	v_mul_f32_dpp v28, v129, v28 row_newbcast:0 row_mask:0xf bank_mask:0xf// 000000006DD4: 0A3838FA FF015081
	v_mul_f32_dpp v29, v129, v29 row_newbcast:1 row_mask:0xf bank_mask:0xf// 000000006DDC: 0A3A3AFA FF015181
	v_mul_f32_dpp v30, v129, v30 row_newbcast:2 row_mask:0xf bank_mask:0xf// 000000006DE4: 0A3C3CFA FF015281
	v_mul_f32_dpp v31, v129, v31 row_newbcast:3 row_mask:0xf bank_mask:0xf// 000000006DEC: 0A3E3EFA FF015381
	v_pk_mul_f32 v[32:33], v[124:125], v[32:33]                // 000000006DF4: D3B14020 1802417C
	v_pk_mul_f32 v[34:35], v[124:125], v[34:35]                // 000000006DFC: D3B14022 1802457C
	v_mul_f32_dpp v32, v129, v32 row_newbcast:4 row_mask:0xf bank_mask:0xf// 000000006E04: 0A4040FA FF015481
	v_mul_f32_dpp v33, v129, v33 row_newbcast:5 row_mask:0xf bank_mask:0xf// 000000006E0C: 0A4242FA FF015581
	v_mul_f32_dpp v34, v129, v34 row_newbcast:6 row_mask:0xf bank_mask:0xf// 000000006E14: 0A4444FA FF015681
	v_mul_f32_dpp v35, v129, v35 row_newbcast:7 row_mask:0xf bank_mask:0xf// 000000006E1C: 0A4646FA FF015781
	v_pk_mul_f32 v[36:37], v[124:125], v[36:37]                // 000000006E24: D3B14024 1802497C
	v_pk_mul_f32 v[38:39], v[124:125], v[38:39]                // 000000006E2C: D3B14026 18024D7C
	v_mul_f32_dpp v36, v129, v36 row_newbcast:8 row_mask:0xf bank_mask:0xf// 000000006E34: 0A4848FA FF015881
	v_mul_f32_dpp v37, v129, v37 row_newbcast:9 row_mask:0xf bank_mask:0xf// 000000006E3C: 0A4A4AFA FF015981
	v_mul_f32_dpp v38, v129, v38 row_newbcast:10 row_mask:0xf bank_mask:0xf// 000000006E44: 0A4C4CFA FF015A81
	v_mul_f32_dpp v39, v129, v39 row_newbcast:11 row_mask:0xf bank_mask:0xf// 000000006E4C: 0A4E4EFA FF015B81
	v_pk_mul_f32 v[40:41], v[124:125], v[40:41]                // 000000006E54: D3B14028 1802517C
	v_pk_mul_f32 v[42:43], v[124:125], v[42:43]                // 000000006E5C: D3B1402A 1802557C
	v_mul_f32_dpp v40, v129, v40 row_newbcast:12 row_mask:0xf bank_mask:0xf// 000000006E64: 0A5050FA FF015C81
	v_mul_f32_dpp v41, v129, v41 row_newbcast:13 row_mask:0xf bank_mask:0xf// 000000006E6C: 0A5252FA FF015D81
	v_mul_f32_dpp v42, v129, v42 row_newbcast:14 row_mask:0xf bank_mask:0xf// 000000006E74: 0A5454FA FF015E81
	v_mul_f32_dpp v43, v129, v43 row_newbcast:15 row_mask:0xf bank_mask:0xf// 000000006E7C: 0A5656FA FF015F81
	v_pk_mul_f32 v[44:45], v[126:127], v[44:45]                // 000000006E84: D3B1402C 1802597E
	v_pk_mul_f32 v[46:47], v[126:127], v[46:47]                // 000000006E8C: D3B1402E 18025D7E
	v_mul_f32_dpp v44, v129, v44 row_newbcast:0 row_mask:0xf bank_mask:0xf// 000000006E94: 0A5858FA FF015081
	v_mul_f32_dpp v45, v129, v45 row_newbcast:1 row_mask:0xf bank_mask:0xf// 000000006E9C: 0A5A5AFA FF015181
	v_mul_f32_dpp v46, v129, v46 row_newbcast:2 row_mask:0xf bank_mask:0xf// 000000006EA4: 0A5C5CFA FF015281
	v_mul_f32_dpp v47, v129, v47 row_newbcast:3 row_mask:0xf bank_mask:0xf// 000000006EAC: 0A5E5EFA FF015381
	v_pk_mul_f32 v[48:49], v[126:127], v[48:49]                // 000000006EB4: D3B14030 1802617E
	v_pk_mul_f32 v[50:51], v[126:127], v[50:51]                // 000000006EBC: D3B14032 1802657E
	v_mul_f32_dpp v48, v129, v48 row_newbcast:4 row_mask:0xf bank_mask:0xf// 000000006EC4: 0A6060FA FF015481
	v_mul_f32_dpp v49, v129, v49 row_newbcast:5 row_mask:0xf bank_mask:0xf// 000000006ECC: 0A6262FA FF015581
	v_mul_f32_dpp v50, v129, v50 row_newbcast:6 row_mask:0xf bank_mask:0xf// 000000006ED4: 0A6464FA FF015681
	v_mul_f32_dpp v51, v129, v51 row_newbcast:7 row_mask:0xf bank_mask:0xf// 000000006EDC: 0A6666FA FF015781
	v_pk_mul_f32 v[52:53], v[126:127], v[52:53]                // 000000006EE4: D3B14034 1802697E
	v_pk_mul_f32 v[54:55], v[126:127], v[54:55]                // 000000006EEC: D3B14036 18026D7E
	v_mul_f32_dpp v52, v129, v52 row_newbcast:8 row_mask:0xf bank_mask:0xf// 000000006EF4: 0A6868FA FF015881
	v_mul_f32_dpp v53, v129, v53 row_newbcast:9 row_mask:0xf bank_mask:0xf// 000000006EFC: 0A6A6AFA FF015981
	v_mul_f32_dpp v54, v129, v54 row_newbcast:10 row_mask:0xf bank_mask:0xf// 000000006F04: 0A6C6CFA FF015A81
	v_mul_f32_dpp v55, v129, v55 row_newbcast:11 row_mask:0xf bank_mask:0xf// 000000006F0C: 0A6E6EFA FF015B81
	v_pk_mul_f32 v[56:57], v[126:127], v[56:57]                // 000000006F14: D3B14038 1802717E
	v_pk_mul_f32 v[58:59], v[126:127], v[58:59]                // 000000006F1C: D3B1403A 1802757E
	v_mul_f32_dpp v56, v129, v56 row_newbcast:12 row_mask:0xf bank_mask:0xf// 000000006F24: 0A7070FA FF015C81
	v_mul_f32_dpp v57, v129, v57 row_newbcast:13 row_mask:0xf bank_mask:0xf// 000000006F2C: 0A7272FA FF015D81
	v_mul_f32_dpp v58, v129, v58 row_newbcast:14 row_mask:0xf bank_mask:0xf// 000000006F34: 0A7474FA FF015E81
	v_mul_f32_dpp v59, v129, v59 row_newbcast:15 row_mask:0xf bank_mask:0xf// 000000006F3C: 0A7676FA FF015F81
	v_mov_b32_e32 v146, v28                                    // 000000006F44: 7F24031C
	v_max3_f32 v146, v28, v29, v146                            // 000000006F48: D1D30092 064A3B1C
	v_max3_f32 v146, v30, v31, v146                            // 000000006F50: D1D30092 064A3F1E
	v_max3_f32 v146, v32, v33, v146                            // 000000006F58: D1D30092 064A4320
	v_max3_f32 v146, v34, v35, v146                            // 000000006F60: D1D30092 064A4722
	v_max3_f32 v146, v36, v37, v146                            // 000000006F68: D1D30092 064A4B24
	v_max3_f32 v146, v38, v39, v146                            // 000000006F70: D1D30092 064A4F26
	v_max3_f32 v146, v40, v41, v146                            // 000000006F78: D1D30092 064A5328
	v_max3_f32 v146, v42, v43, v146                            // 000000006F80: D1D30092 064A572A
	v_mov_b32_e32 v147, v44                                    // 000000006F88: 7F26032C
	v_max3_f32 v147, v44, v45, v147                            // 000000006F8C: D1D30093 064E5B2C
	v_max3_f32 v147, v46, v47, v147                            // 000000006F94: D1D30093 064E5F2E
	v_max3_f32 v147, v48, v49, v147                            // 000000006F9C: D1D30093 064E6330
	v_max3_f32 v147, v50, v51, v147                            // 000000006FA4: D1D30093 064E6732
	v_max3_f32 v147, v52, v53, v147                            // 000000006FAC: D1D30093 064E6B34
	v_max3_f32 v147, v54, v55, v147                            // 000000006FB4: D1D30093 064E6F36
	v_max3_f32 v147, v56, v57, v147                            // 000000006FBC: D1D30093 064E7338
	v_max3_f32 v147, v58, v59, v147                            // 000000006FC4: D1D30093 064E773A
	ds_write_b64 v210, v[146:147]                              // 000000006FCC: D89A0000 000092D2
	v_pk_mul_f32 v[108:109], v[140:141], v[108:109]            // 000000006FD4: D3B1406C 1802D98C
	v_pk_mul_f32 v[110:111], v[140:141], v[110:111]            // 000000006FDC: D3B1406E 1802DD8C
	v_pk_mul_f32 v[112:113], v[140:141], v[112:113]            // 000000006FE4: D3B14070 1802E18C
	v_pk_mul_f32 v[114:115], v[140:141], v[114:115]            // 000000006FEC: D3B14072 1802E58C
	v_pk_mul_f32 v[116:117], v[142:143], v[116:117]            // 000000006FF4: D3B14074 1802E98E
	v_pk_mul_f32 v[118:119], v[142:143], v[118:119]            // 000000006FFC: D3B14076 1802ED8E
	v_pk_mul_f32 v[120:121], v[142:143], v[120:121]            // 000000007004: D3B14078 1802F18E
	v_pk_mul_f32 v[122:123], v[142:143], v[122:123]            // 00000000700C: D3B1407A 1802F58E
	s_waitcnt lgkmcnt(0)                                       // 000000007014: BF8CC07F
	s_barrier                                                  // 000000007018: BF8A0000
	v_pk_mul_f32 v[92:93], v[132:133], v[92:93]                // 00000000701C: D3B1405C 1802B984
	v_pk_mul_f32 v[94:95], v[132:133], v[94:95]                // 000000007024: D3B1405E 1802BD84
	v_pk_mul_f32 v[96:97], v[132:133], v[96:97]                // 00000000702C: D3B14060 1802C184
	v_pk_mul_f32 v[98:99], v[132:133], v[98:99]                // 000000007034: D3B14062 1802C584
	v_pk_mul_f32 v[100:101], v[134:135], v[100:101]            // 00000000703C: D3B14064 1802C986
	v_pk_mul_f32 v[102:103], v[134:135], v[102:103]            // 000000007044: D3B14066 1802CD86
	v_pk_mul_f32 v[104:105], v[134:135], v[104:105]            // 00000000704C: D3B14068 1802D186
	v_pk_mul_f32 v[106:107], v[134:135], v[106:107]            // 000000007054: D3B1406A 1802D586
	ds_read_b64 v[148:149], v211                               // 00000000705C: D8EC0000 940000D3
	ds_read_b64 v[150:151], v211 offset:128                    // 000000007064: D8EC0080 960000D3
	ds_read_b64 v[152:153], v211 offset:256                    // 00000000706C: D8EC0100 980000D3
	ds_read_b64 v[154:155], v211 offset:384                    // 000000007074: D8EC0180 9A0000D3
	ds_read_b64 v[156:157], v211 offset:512                    // 00000000707C: D8EC0200 9C0000D3
	ds_read_b64 v[158:159], v211 offset:640                    // 000000007084: D8EC0280 9E0000D3
	ds_read_b64 v[160:161], v211 offset:768                    // 00000000708C: D8EC0300 A00000D3
	ds_read_b64 v[162:163], v211 offset:896                    // 000000007094: D8EC0380 A20000D3
	ds_read_b64 v[164:165], v211 offset:1024                   // 00000000709C: D8EC0400 A40000D3
	ds_read_b64 v[166:167], v211 offset:1152                   // 0000000070A4: D8EC0480 A60000D3
	ds_read_b64 v[168:169], v211 offset:1280                   // 0000000070AC: D8EC0500 A80000D3
	ds_read_b64 v[170:171], v211 offset:1408                   // 0000000070B4: D8EC0580 AA0000D3
	ds_read_b64 v[172:173], v211 offset:1536                   // 0000000070BC: D8EC0600 AC0000D3
	ds_read_b64 v[174:175], v211 offset:1664                   // 0000000070C4: D8EC0680 AE0000D3
	ds_read_b64 v[176:177], v211 offset:1792                   // 0000000070CC: D8EC0700 B00000D3
	ds_read_b64 v[178:179], v211 offset:1920                   // 0000000070D4: D8EC0780 B20000D3
	s_waitcnt lgkmcnt(0)                                       // 0000000070DC: BF8CC07F
	v_max3_f32 v146, v148, v150, v146                          // 0000000070E0: D1D30092 064B2D94
	v_max3_f32 v147, v149, v151, v147                          // 0000000070E8: D1D30093 064F2F95
	v_max3_f32 v146, v152, v154, v146                          // 0000000070F0: D1D30092 064B3598
	v_max3_f32 v147, v153, v155, v147                          // 0000000070F8: D1D30093 064F3799
	v_max3_f32 v146, v156, v158, v146                          // 000000007100: D1D30092 064B3D9C
	v_max3_f32 v147, v157, v159, v147                          // 000000007108: D1D30093 064F3F9D
	v_max3_f32 v146, v160, v162, v146                          // 000000007110: D1D30092 064B45A0
	v_max3_f32 v147, v161, v163, v147                          // 000000007118: D1D30093 064F47A1
	v_max3_f32 v146, v164, v166, v146                          // 000000007120: D1D30092 064B4DA4
	v_max3_f32 v147, v165, v167, v147                          // 000000007128: D1D30093 064F4FA5
	v_max3_f32 v146, v168, v170, v146                          // 000000007130: D1D30092 064B55A8
	v_max3_f32 v147, v169, v171, v147                          // 000000007138: D1D30093 064F57A9
	v_max3_f32 v146, v172, v174, v146                          // 000000007140: D1D30092 064B5DAC
	v_max3_f32 v147, v173, v175, v147                          // 000000007148: D1D30093 064F5FAD
	v_max3_f32 v146, v176, v178, v146                          // 000000007150: D1D30092 064B65B0
	v_max3_f32 v147, v177, v179, v147                          // 000000007158: D1D30093 064F67B1
	v_max_f32_e32 v138, v146, v136                             // 000000007160: 17151192
	v_mul_f32_e64 v180, -s51, v138                             // 000000007164: D10500B4 20031433
	v_mov_b32_e32 v181, v180                                   // 00000000716C: 7F6A03B4
	v_pk_fma_f32 v[28:29], v[28:29], s[68:69], v[180:181]      // 000000007170: D3B0401C 1ED0891C
	v_pk_fma_f32 v[30:31], v[30:31], s[68:69], v[180:181]      // 000000007178: D3B0401E 1ED0891E
	v_exp_f32_e32 v28, v28                                     // 000000007180: 7E38411C
	v_exp_f32_e32 v29, v29                                     // 000000007184: 7E3A411D
	v_exp_f32_e32 v30, v30                                     // 000000007188: 7E3C411E
	v_exp_f32_e32 v31, v31                                     // 00000000718C: 7E3E411F
	v_pk_fma_f32 v[32:33], v[32:33], s[68:69], v[180:181]      // 000000007190: D3B04020 1ED08920
	v_pk_fma_f32 v[34:35], v[34:35], s[68:69], v[180:181]      // 000000007198: D3B04022 1ED08922
	v_exp_f32_e32 v32, v32                                     // 0000000071A0: 7E404120
	v_exp_f32_e32 v33, v33                                     // 0000000071A4: 7E424121
	v_exp_f32_e32 v34, v34                                     // 0000000071A8: 7E444122
	v_exp_f32_e32 v35, v35                                     // 0000000071AC: 7E464123
	v_pk_fma_f32 v[36:37], v[36:37], s[68:69], v[180:181]      // 0000000071B0: D3B04024 1ED08924
	v_pk_fma_f32 v[38:39], v[38:39], s[68:69], v[180:181]      // 0000000071B8: D3B04026 1ED08926
	v_exp_f32_e32 v36, v36                                     // 0000000071C0: 7E484124
	v_exp_f32_e32 v37, v37                                     // 0000000071C4: 7E4A4125
	v_exp_f32_e32 v38, v38                                     // 0000000071C8: 7E4C4126
	v_exp_f32_e32 v39, v39                                     // 0000000071CC: 7E4E4127
	v_pk_fma_f32 v[40:41], v[40:41], s[68:69], v[180:181]      // 0000000071D0: D3B04028 1ED08928
	v_pk_fma_f32 v[42:43], v[42:43], s[68:69], v[180:181]      // 0000000071D8: D3B0402A 1ED0892A
	v_exp_f32_e32 v40, v40                                     // 0000000071E0: 7E504128
	v_exp_f32_e32 v41, v41                                     // 0000000071E4: 7E524129
	v_exp_f32_e32 v42, v42                                     // 0000000071E8: 7E54412A
	v_exp_f32_e32 v43, v43                                     // 0000000071EC: 7E56412B
	v_max_f32_e32 v139, v147, v137                             // 0000000071F0: 17171393
	v_mul_f32_e64 v180, -s51, v139                             // 0000000071F4: D10500B4 20031633
	v_mov_b32_e32 v181, v180                                   // 0000000071FC: 7F6A03B4
	v_pk_fma_f32 v[44:45], v[44:45], s[68:69], v[180:181]      // 000000007200: D3B0402C 1ED0892C
	v_pk_fma_f32 v[46:47], v[46:47], s[68:69], v[180:181]      // 000000007208: D3B0402E 1ED0892E
	v_exp_f32_e32 v44, v44                                     // 000000007210: 7E58412C
	v_exp_f32_e32 v45, v45                                     // 000000007214: 7E5A412D
	v_exp_f32_e32 v46, v46                                     // 000000007218: 7E5C412E
	v_exp_f32_e32 v47, v47                                     // 00000000721C: 7E5E412F
	v_pk_fma_f32 v[48:49], v[48:49], s[68:69], v[180:181]      // 000000007220: D3B04030 1ED08930
	v_pk_fma_f32 v[50:51], v[50:51], s[68:69], v[180:181]      // 000000007228: D3B04032 1ED08932
	v_exp_f32_e32 v48, v48                                     // 000000007230: 7E604130
	v_exp_f32_e32 v49, v49                                     // 000000007234: 7E624131
	v_exp_f32_e32 v50, v50                                     // 000000007238: 7E644132
	v_exp_f32_e32 v51, v51                                     // 00000000723C: 7E664133
	v_pk_fma_f32 v[52:53], v[52:53], s[68:69], v[180:181]      // 000000007240: D3B04034 1ED08934
	v_pk_fma_f32 v[54:55], v[54:55], s[68:69], v[180:181]      // 000000007248: D3B04036 1ED08936
	v_exp_f32_e32 v52, v52                                     // 000000007250: 7E684134
	v_exp_f32_e32 v53, v53                                     // 000000007254: 7E6A4135
	v_exp_f32_e32 v54, v54                                     // 000000007258: 7E6C4136
	v_exp_f32_e32 v55, v55                                     // 00000000725C: 7E6E4137
	v_pk_fma_f32 v[56:57], v[56:57], s[68:69], v[180:181]      // 000000007260: D3B04038 1ED08938
	v_pk_fma_f32 v[58:59], v[58:59], s[68:69], v[180:181]      // 000000007268: D3B0403A 1ED0893A
	v_exp_f32_e32 v56, v56                                     // 000000007270: 7E704138
	v_exp_f32_e32 v57, v57                                     // 000000007274: 7E724139
	v_exp_f32_e32 v58, v58                                     // 000000007278: 7E74413A
	v_exp_f32_e32 v59, v59                                     // 00000000727C: 7E76413B
	v_mul_f32_dpp v60, v131, v28 row_newbcast:0 row_mask:0xf bank_mask:0xf// 000000007280: 0A7838FA FF015083
	v_mul_f32_dpp v61, v131, v29 row_newbcast:1 row_mask:0xf bank_mask:0xf// 000000007288: 0A7A3AFA FF015183
	v_mul_f32_dpp v62, v131, v30 row_newbcast:2 row_mask:0xf bank_mask:0xf// 000000007290: 0A7C3CFA FF015283
	v_mul_f32_dpp v63, v131, v31 row_newbcast:3 row_mask:0xf bank_mask:0xf// 000000007298: 0A7E3EFA FF015383
	v_mul_f32_dpp v64, v131, v32 row_newbcast:4 row_mask:0xf bank_mask:0xf// 0000000072A0: 0A8040FA FF015483
	v_mul_f32_dpp v65, v131, v33 row_newbcast:5 row_mask:0xf bank_mask:0xf// 0000000072A8: 0A8242FA FF015583
	v_mul_f32_dpp v66, v131, v34 row_newbcast:6 row_mask:0xf bank_mask:0xf// 0000000072B0: 0A8444FA FF015683
	v_mul_f32_dpp v67, v131, v35 row_newbcast:7 row_mask:0xf bank_mask:0xf// 0000000072B8: 0A8646FA FF015783
	v_mul_f32_dpp v68, v131, v36 row_newbcast:8 row_mask:0xf bank_mask:0xf// 0000000072C0: 0A8848FA FF015883
	v_mul_f32_dpp v69, v131, v37 row_newbcast:9 row_mask:0xf bank_mask:0xf// 0000000072C8: 0A8A4AFA FF015983
	v_mul_f32_dpp v70, v131, v38 row_newbcast:10 row_mask:0xf bank_mask:0xf// 0000000072D0: 0A8C4CFA FF015A83
	v_mul_f32_dpp v71, v131, v39 row_newbcast:11 row_mask:0xf bank_mask:0xf// 0000000072D8: 0A8E4EFA FF015B83
	v_mul_f32_dpp v72, v131, v40 row_newbcast:12 row_mask:0xf bank_mask:0xf// 0000000072E0: 0A9050FA FF015C83
	v_mul_f32_dpp v73, v131, v41 row_newbcast:13 row_mask:0xf bank_mask:0xf// 0000000072E8: 0A9252FA FF015D83
	v_mul_f32_dpp v74, v131, v42 row_newbcast:14 row_mask:0xf bank_mask:0xf// 0000000072F0: 0A9454FA FF015E83
	v_mul_f32_dpp v75, v131, v43 row_newbcast:15 row_mask:0xf bank_mask:0xf// 0000000072F8: 0A9656FA FF015F83
	v_mul_f32_dpp v76, v131, v44 row_newbcast:0 row_mask:0xf bank_mask:0xf// 000000007300: 0A9858FA FF015083
	v_mul_f32_dpp v77, v131, v45 row_newbcast:1 row_mask:0xf bank_mask:0xf// 000000007308: 0A9A5AFA FF015183
	v_mul_f32_dpp v78, v131, v46 row_newbcast:2 row_mask:0xf bank_mask:0xf// 000000007310: 0A9C5CFA FF015283
	v_mul_f32_dpp v79, v131, v47 row_newbcast:3 row_mask:0xf bank_mask:0xf// 000000007318: 0A9E5EFA FF015383
	v_mul_f32_dpp v80, v131, v48 row_newbcast:4 row_mask:0xf bank_mask:0xf// 000000007320: 0AA060FA FF015483
	v_mul_f32_dpp v81, v131, v49 row_newbcast:5 row_mask:0xf bank_mask:0xf// 000000007328: 0AA262FA FF015583
	v_mul_f32_dpp v82, v131, v50 row_newbcast:6 row_mask:0xf bank_mask:0xf// 000000007330: 0AA464FA FF015683
	v_mul_f32_dpp v83, v131, v51 row_newbcast:7 row_mask:0xf bank_mask:0xf// 000000007338: 0AA666FA FF015783
	v_mul_f32_dpp v84, v131, v52 row_newbcast:8 row_mask:0xf bank_mask:0xf// 000000007340: 0AA868FA FF015883
	v_mul_f32_dpp v85, v131, v53 row_newbcast:9 row_mask:0xf bank_mask:0xf// 000000007348: 0AAA6AFA FF015983
	v_mul_f32_dpp v86, v131, v54 row_newbcast:10 row_mask:0xf bank_mask:0xf// 000000007350: 0AAC6CFA FF015A83
	v_mul_f32_dpp v87, v131, v55 row_newbcast:11 row_mask:0xf bank_mask:0xf// 000000007358: 0AAE6EFA FF015B83
	v_mul_f32_dpp v88, v131, v56 row_newbcast:12 row_mask:0xf bank_mask:0xf// 000000007360: 0AB070FA FF015C83
	v_mul_f32_dpp v89, v131, v57 row_newbcast:13 row_mask:0xf bank_mask:0xf// 000000007368: 0AB272FA FF015D83
	v_mul_f32_dpp v90, v131, v58 row_newbcast:14 row_mask:0xf bank_mask:0xf// 000000007370: 0AB474FA FF015E83
	v_mul_f32_dpp v91, v131, v59 row_newbcast:15 row_mask:0xf bank_mask:0xf// 000000007378: 0AB676FA FF015F83
	v_mov_b32_e32 v146, 0x358637bd                             // 000000007380: 7F2402FF 358637BD
	v_max3_f32 v146, |v60|, |v61|, v146                        // 000000007388: D1D30392 064A7B3C
	v_max3_f32 v146, |v62|, |v63|, v146                        // 000000007390: D1D30392 064A7F3E
	v_max3_f32 v146, |v64|, |v65|, v146                        // 000000007398: D1D30392 064A8340
	v_max3_f32 v146, |v66|, |v67|, v146                        // 0000000073A0: D1D30392 064A8742
	v_max3_f32 v146, |v68|, |v69|, v146                        // 0000000073A8: D1D30392 064A8B44
	v_max3_f32 v146, |v70|, |v71|, v146                        // 0000000073B0: D1D30392 064A8F46
	v_max3_f32 v146, |v72|, |v73|, v146                        // 0000000073B8: D1D30392 064A9348
	v_max3_f32 v146, |v74|, |v75|, v146                        // 0000000073C0: D1D30392 064A974A
	v_mov_b32_e32 v147, 0x358637bd                             // 0000000073C8: 7F2602FF 358637BD
	v_max3_f32 v147, |v76|, |v77|, v147                        // 0000000073D0: D1D30393 064E9B4C
	v_max3_f32 v147, |v78|, |v79|, v147                        // 0000000073D8: D1D30393 064E9F4E
	v_max3_f32 v147, |v80|, |v81|, v147                        // 0000000073E0: D1D30393 064EA350
	v_max3_f32 v147, |v82|, |v83|, v147                        // 0000000073E8: D1D30393 064EA752
	v_max3_f32 v147, |v84|, |v85|, v147                        // 0000000073F0: D1D30393 064EAB54
	v_max3_f32 v147, |v86|, |v87|, v147                        // 0000000073F8: D1D30393 064EAF56
	v_max3_f32 v147, |v88|, |v89|, v147                        // 000000007400: D1D30393 064EB358
	v_max3_f32 v147, |v90|, |v91|, v147                        // 000000007408: D1D30393 064EB75A
	ds_write_b64 v210, v[146:147] offset:2304                  // 000000007410: D89A0900 000092D2
	buffer_load_dword v128, v202, s[28:31], 0 offen            // 000000007418: E0501000 800780CA
	v_sub_f32_e32 v140, v136, v138                             // 000000007420: 05191588
	v_cmp_eq_u32_e64 s[92:93], v191, v136                      // 000000007424: D0CA005C 000311BF
	s_nop 0                                                    // 00000000742C: BF800000
	v_cndmask_b32_e64 v140, v140, 0, s[92:93]                  // 000000007430: D100008C 0171018C
	v_mov_b32_e32 v136, v138                                   // 000000007438: 7F10038A
	v_mul_f32_e32 v140, s51, v140                              // 00000000743C: 0B191833
	v_exp_f32_e32 v140, v140                                   // 000000007440: 7F18418C
	v_sub_f32_e32 v142, v137, v139                             // 000000007444: 051D1789
	v_cmp_eq_u32_e64 s[92:93], v191, v137                      // 000000007448: D0CA005C 000313BF
	s_nop 0                                                    // 000000007450: BF800000
	v_cndmask_b32_e64 v142, v142, 0, s[92:93]                  // 000000007454: D100008E 0171018E
	v_mov_b32_e32 v137, v139                                   // 00000000745C: 7F12038B
	v_mul_f32_e32 v142, s51, v142                              // 000000007460: 0B1D1C33
	v_exp_f32_e32 v142, v142                                   // 000000007464: 7F1C418E
	v_mov_b32_e32 v141, v140                                   // 000000007468: 7F1A038C
	v_mov_b32_e32 v143, v142                                   // 00000000746C: 7F1E038E
	buffer_load_dword v130, v203, s[32:35], 0 offen            // 000000007470: E0501000 800882CB
	s_waitcnt lgkmcnt(0)                                       // 000000007478: BF8CC07F
	s_barrier                                                  // 00000000747C: BF8A0000
	v_mul_f32_e32 v144, v140, v144                             // 000000007480: 0B21218C
	v_add_f32_e32 v144, v28, v144                              // 000000007484: 0321211C
	v_add_f32_e32 v144, v29, v144                              // 000000007488: 0321211D
	v_add_f32_e32 v144, v30, v144                              // 00000000748C: 0321211E
	v_add_f32_e32 v144, v31, v144                              // 000000007490: 0321211F
	v_add_f32_e32 v144, v32, v144                              // 000000007494: 03212120
	v_add_f32_e32 v144, v33, v144                              // 000000007498: 03212121
	v_add_f32_e32 v144, v34, v144                              // 00000000749C: 03212122
	v_add_f32_e32 v144, v35, v144                              // 0000000074A0: 03212123
	v_add_f32_e32 v144, v36, v144                              // 0000000074A4: 03212124
	v_add_f32_e32 v144, v37, v144                              // 0000000074A8: 03212125
	v_add_f32_e32 v144, v38, v144                              // 0000000074AC: 03212126
	v_add_f32_e32 v144, v39, v144                              // 0000000074B0: 03212127
	v_add_f32_e32 v144, v40, v144                              // 0000000074B4: 03212128
	v_add_f32_e32 v144, v41, v144                              // 0000000074B8: 03212129
	v_add_f32_e32 v144, v42, v144                              // 0000000074BC: 0321212A
	v_add_f32_e32 v144, v43, v144                              // 0000000074C0: 0321212B
	v_mul_f32_e32 v145, v142, v145                             // 0000000074C4: 0B23238E
	v_add_f32_e32 v145, v44, v145                              // 0000000074C8: 0323232C
	v_add_f32_e32 v145, v45, v145                              // 0000000074CC: 0323232D
	v_add_f32_e32 v145, v46, v145                              // 0000000074D0: 0323232E
	v_add_f32_e32 v145, v47, v145                              // 0000000074D4: 0323232F
	v_add_f32_e32 v145, v48, v145                              // 0000000074D8: 03232330
	v_add_f32_e32 v145, v49, v145                              // 0000000074DC: 03232331
	v_add_f32_e32 v145, v50, v145                              // 0000000074E0: 03232332
	v_add_f32_e32 v145, v51, v145                              // 0000000074E4: 03232333
	v_add_f32_e32 v145, v52, v145                              // 0000000074E8: 03232334
	v_add_f32_e32 v145, v53, v145                              // 0000000074EC: 03232335
	v_add_f32_e32 v145, v54, v145                              // 0000000074F0: 03232336
	v_add_f32_e32 v145, v55, v145                              // 0000000074F4: 03232337
	v_add_f32_e32 v145, v56, v145                              // 0000000074F8: 03232338
	v_add_f32_e32 v145, v57, v145                              // 0000000074FC: 03232339
	v_add_f32_e32 v145, v58, v145                              // 000000007500: 0323233A
	v_add_f32_e32 v145, v59, v145                              // 000000007504: 0323233B
	ds_read_b64 v[148:149], v211 offset:2304                   // 000000007508: D8EC0900 940000D3
	ds_read_b64 v[150:151], v211 offset:2432                   // 000000007510: D8EC0980 960000D3
	ds_read_b64 v[152:153], v211 offset:2560                   // 000000007518: D8EC0A00 980000D3
	ds_read_b64 v[154:155], v211 offset:2688                   // 000000007520: D8EC0A80 9A0000D3
	ds_read_b64 v[156:157], v211 offset:2816                   // 000000007528: D8EC0B00 9C0000D3
	ds_read_b64 v[158:159], v211 offset:2944                   // 000000007530: D8EC0B80 9E0000D3
	ds_read_b64 v[160:161], v211 offset:3072                   // 000000007538: D8EC0C00 A00000D3
	ds_read_b64 v[162:163], v211 offset:3200                   // 000000007540: D8EC0C80 A20000D3
	ds_read_b64 v[164:165], v211 offset:3328                   // 000000007548: D8EC0D00 A40000D3
	ds_read_b64 v[166:167], v211 offset:3456                   // 000000007550: D8EC0D80 A60000D3
	ds_read_b64 v[168:169], v211 offset:3584                   // 000000007558: D8EC0E00 A80000D3
	ds_read_b64 v[170:171], v211 offset:3712                   // 000000007560: D8EC0E80 AA0000D3
	ds_read_b64 v[172:173], v211 offset:3840                   // 000000007568: D8EC0F00 AC0000D3
	ds_read_b64 v[174:175], v211 offset:3968                   // 000000007570: D8EC0F80 AE0000D3
	ds_read_b64 v[176:177], v211 offset:4096                   // 000000007578: D8EC1000 B00000D3
	ds_read_b64 v[178:179], v211 offset:4224                   // 000000007580: D8EC1080 B20000D3
	s_waitcnt lgkmcnt(0)                                       // 000000007588: BF8CC07F
	v_max3_f32 v146, v148, v150, v146                          // 00000000758C: D1D30092 064B2D94
	v_max3_f32 v147, v149, v151, v147                          // 000000007594: D1D30093 064F2F95
	v_max3_f32 v146, v152, v154, v146                          // 00000000759C: D1D30092 064B3598
	v_max3_f32 v147, v153, v155, v147                          // 0000000075A4: D1D30093 064F3799
	v_max3_f32 v146, v156, v158, v146                          // 0000000075AC: D1D30092 064B3D9C
	v_max3_f32 v147, v157, v159, v147                          // 0000000075B4: D1D30093 064F3F9D
	v_max3_f32 v146, v160, v162, v146                          // 0000000075BC: D1D30092 064B45A0
	v_max3_f32 v147, v161, v163, v147                          // 0000000075C4: D1D30093 064F47A1
	v_max3_f32 v146, v164, v166, v146                          // 0000000075CC: D1D30092 064B4DA4
	v_max3_f32 v147, v165, v167, v147                          // 0000000075D4: D1D30093 064F4FA5
	v_max3_f32 v146, v168, v170, v146                          // 0000000075DC: D1D30092 064B55A8
	v_max3_f32 v147, v169, v171, v147                          // 0000000075E4: D1D30093 064F57A9
	v_max3_f32 v146, v172, v174, v146                          // 0000000075EC: D1D30092 064B5DAC
	v_max3_f32 v147, v173, v175, v147                          // 0000000075F4: D1D30093 064F5FAD
	v_max3_f32 v146, v176, v178, v146                          // 0000000075FC: D1D30092 064B65B0
	v_max3_f32 v147, v177, v179, v147                          // 000000007604: D1D30093 064F67B1
	v_rcp_f32_e32 v146, v146                                   // 00000000760C: 7F244592
	v_rcp_f32_e32 v147, v147                                   // 000000007610: 7F264593
	v_mul_f32_e32 v146, 0x43700000, v146                       // 000000007614: 0B2524FF 43700000
	v_mul_f32_e32 v147, 0x43700000, v147                       // 00000000761C: 0B2726FF 43700000
	v_mul_f32_e32 v28, v146, v60                               // 000000007624: 0A387992
	v_mul_f32_e32 v29, v146, v61                               // 000000007628: 0A3A7B92
	v_mul_f32_e32 v30, v146, v62                               // 00000000762C: 0A3C7D92
	v_mul_f32_e32 v31, v146, v63                               // 000000007630: 0A3E7F92
	v_mul_f32_e32 v32, v146, v64                               // 000000007634: 0A408192
	v_mul_f32_e32 v33, v146, v65                               // 000000007638: 0A428392
	v_mul_f32_e32 v34, v146, v66                               // 00000000763C: 0A448592
	v_mul_f32_e32 v35, v146, v67                               // 000000007640: 0A468792
	v_mul_f32_e32 v36, v146, v68                               // 000000007644: 0A488992
	v_mul_f32_e32 v37, v146, v69                               // 000000007648: 0A4A8B92
	v_mul_f32_e32 v38, v146, v70                               // 00000000764C: 0A4C8D92
	v_mul_f32_e32 v39, v146, v71                               // 000000007650: 0A4E8F92
	v_mul_f32_e32 v40, v146, v72                               // 000000007654: 0A509192
	v_mul_f32_e32 v41, v146, v73                               // 000000007658: 0A529392
	v_mul_f32_e32 v42, v146, v74                               // 00000000765C: 0A549592
	v_mul_f32_e32 v43, v146, v75                               // 000000007660: 0A569792
	v_mul_f32_e32 v44, v147, v76                               // 000000007664: 0A589993
	v_mul_f32_e32 v45, v147, v77                               // 000000007668: 0A5A9B93
	v_mul_f32_e32 v46, v147, v78                               // 00000000766C: 0A5C9D93
	v_mul_f32_e32 v47, v147, v79                               // 000000007670: 0A5E9F93
	v_mul_f32_e32 v48, v147, v80                               // 000000007674: 0A60A193
	v_mul_f32_e32 v49, v147, v81                               // 000000007678: 0A62A393
	v_mul_f32_e32 v50, v147, v82                               // 00000000767C: 0A64A593
	v_mul_f32_e32 v51, v147, v83                               // 000000007680: 0A66A793
	v_mul_f32_e32 v52, v147, v84                               // 000000007684: 0A68A993
	v_mul_f32_e32 v53, v147, v85                               // 000000007688: 0A6AAB93
	v_mul_f32_e32 v54, v147, v86                               // 00000000768C: 0A6CAD93
	v_mul_f32_e32 v55, v147, v87                               // 000000007690: 0A6EAF93
	v_mul_f32_e32 v56, v147, v88                               // 000000007694: 0A70B193
	v_mul_f32_e32 v57, v147, v89                               // 000000007698: 0A72B393
	v_mul_f32_e32 v58, v147, v90                               // 00000000769C: 0A74B593
	v_mul_f32_e32 v59, v147, v91                               // 0000000076A0: 0A76B793
	v_cvt_pk_fp8_f32 v28, v28, v29                             // 0000000076A4: D2A2001C 00023B1C
	v_cvt_pk_fp8_f32 v28, v30, v31 op_sel:[0,0,1]              // 0000000076AC: D2A2401C 00023F1E
	v_cvt_pk_fp8_f32 v29, v32, v33                             // 0000000076B4: D2A2001D 00024320
	v_cvt_pk_fp8_f32 v29, v34, v35 op_sel:[0,0,1]              // 0000000076BC: D2A2401D 00024722
	v_cvt_pk_fp8_f32 v30, v36, v37                             // 0000000076C4: D2A2001E 00024B24
	v_cvt_pk_fp8_f32 v30, v38, v39 op_sel:[0,0,1]              // 0000000076CC: D2A2401E 00024F26
	v_cvt_pk_fp8_f32 v31, v40, v41                             // 0000000076D4: D2A2001F 00025328
	v_cvt_pk_fp8_f32 v31, v42, v43 op_sel:[0,0,1]              // 0000000076DC: D2A2401F 0002572A
	v_cvt_pk_fp8_f32 v32, v44, v45                             // 0000000076E4: D2A20020 00025B2C
	v_cvt_pk_fp8_f32 v32, v46, v47 op_sel:[0,0,1]              // 0000000076EC: D2A24020 00025F2E
	v_cvt_pk_fp8_f32 v33, v48, v49                             // 0000000076F4: D2A20021 00026330
	v_cvt_pk_fp8_f32 v33, v50, v51 op_sel:[0,0,1]              // 0000000076FC: D2A24021 00026732
	v_cvt_pk_fp8_f32 v34, v52, v53                             // 000000007704: D2A20022 00026B34
	v_cvt_pk_fp8_f32 v34, v54, v55 op_sel:[0,0,1]              // 00000000770C: D2A24022 00026F36
	v_cvt_pk_fp8_f32 v35, v56, v57                             // 000000007714: D2A20023 00027338
	v_cvt_pk_fp8_f32 v35, v58, v59 op_sel:[0,0,1]              // 00000000771C: D2A24023 0002773A
	ds_write_b32 v212, v28 offset:4608                         // 000000007724: D81A1200 00001CD4
	ds_write_b32 v212, v29 offset:5632                         // 00000000772C: D81A1600 00001DD4
	ds_write_b32 v212, v30 offset:6656                         // 000000007734: D81A1A00 00001ED4
	ds_write_b32 v212, v31 offset:7680                         // 00000000773C: D81A1E00 00001FD4
	ds_write_b32 v212, v32 offset:8704                         // 000000007744: D81A2200 000020D4
	ds_write_b32 v212, v33 offset:9728                         // 00000000774C: D81A2600 000021D4
	ds_write_b32 v212, v34 offset:10752                        // 000000007754: D81A2A00 000022D4
	ds_write_b32 v212, v35 offset:11776                        // 00000000775C: D81A2E00 000023D4
	v_rcp_f32_e32 v132, v146                                   // 000000007764: 7F084592
	v_rcp_f32_e32 v134, v147                                   // 000000007768: 7F0C4593
	v_mov_b32_e32 v133, v132                                   // 00000000776C: 7F0A0384
	v_mov_b32_e32 v135, v134                                   // 000000007770: 7F0E0386
	v_pk_add_f32 v[108:109], v[108:109], v[92:93]              // 000000007774: D3B2406C 1802B96C
	v_pk_add_f32 v[110:111], v[110:111], v[94:95]              // 00000000777C: D3B2406E 1802BD6E
	v_pk_add_f32 v[112:113], v[112:113], v[96:97]              // 000000007784: D3B24070 1802C170
	v_pk_add_f32 v[114:115], v[114:115], v[98:99]              // 00000000778C: D3B24072 1802C572
	v_pk_add_f32 v[116:117], v[116:117], v[100:101]            // 000000007794: D3B24074 1802C974
	v_pk_add_f32 v[118:119], v[118:119], v[102:103]            // 00000000779C: D3B24076 1802CD76
	v_pk_add_f32 v[120:121], v[120:121], v[104:105]            // 0000000077A4: D3B24078 1802D178
	v_pk_add_f32 v[122:123], v[122:123], v[106:107]            // 0000000077AC: D3B2407A 1802D57A
	s_waitcnt lgkmcnt(0)                                       // 0000000077B4: BF8CC07F
	s_barrier                                                  // 0000000077B8: BF8A0000
	ds_read_b128 v[28:31], v213 offset:4608                    // 0000000077BC: D9FE1200 1C0000D5
	ds_read_b128 v[32:35], v213 offset:5632                    // 0000000077C4: D9FE1600 200000D5
	ds_read_b128 v[36:39], v213 offset:6656                    // 0000000077CC: D9FE1A00 240000D5
	ds_read_b128 v[40:43], v213 offset:7680                    // 0000000077D4: D9FE1E00 280000D5
	ds_read_b128 v[44:47], v213 offset:8704                    // 0000000077DC: D9FE2200 2C0000D5
	ds_read_b128 v[48:51], v213 offset:9728                    // 0000000077E4: D9FE2600 300000D5
	ds_read_b128 v[52:55], v213 offset:10752                   // 0000000077EC: D9FE2A00 340000D5
	ds_read_b128 v[56:59], v213 offset:11776                   // 0000000077F4: D9FE2E00 380000D5
	s_waitcnt vmcnt(10)                                        // 0000000077FC: BF8C0F7A
	s_waitcnt lgkmcnt(7)                                       // 000000007800: BF8CC77F
	v_mfma_f32_16x16x32_fp8_fp8 v[92:95], a[96:97], v[28:29], 0// 000000007804: D3F3005C 0A023960
	v_mfma_f32_16x16x32_fp8_fp8 v[96:99], a[112:113], v[28:29], 0// 00000000780C: D3F30060 0A023970
	v_mfma_f32_16x16x32_fp8_fp8 v[92:95], a[98:99], v[30:31], v[92:95]// 000000007814: D3F3005C 0D723D62
	buffer_load_dwordx4 a[64:67], v198, s[16:19], 0 offen      // 00000000781C: E05C1000 808440C6
	v_mfma_f32_16x16x32_fp8_fp8 v[96:99], a[114:115], v[30:31], v[96:99]// 000000007824: D3F30060 0D823D72
	s_waitcnt lgkmcnt(6)                                       // 00000000782C: BF8CC67F
	v_mfma_f32_16x16x32_fp8_fp8 v[92:95], a[100:101], v[32:33], v[92:95]// 000000007830: D3F3005C 0D724164
	v_mfma_f32_16x16x32_fp8_fp8 v[96:99], a[116:117], v[32:33], v[96:99]// 000000007838: D3F30060 0D824174
	v_mfma_f32_16x16x32_fp8_fp8 v[92:95], a[102:103], v[34:35], v[92:95]// 000000007840: D3F3005C 0D724566
	buffer_load_dwordx4 a[68:71], v199, s[16:19], 0 offen      // 000000007848: E05C1000 808444C7
	v_mfma_f32_16x16x32_fp8_fp8 v[96:99], a[118:119], v[34:35], v[96:99]// 000000007850: D3F30060 0D824576
	s_waitcnt lgkmcnt(5)                                       // 000000007858: BF8CC57F
	v_mfma_f32_16x16x32_fp8_fp8 v[92:95], a[104:105], v[36:37], v[92:95]// 00000000785C: D3F3005C 0D724968
	v_mfma_f32_16x16x32_fp8_fp8 v[96:99], a[120:121], v[36:37], v[96:99]// 000000007864: D3F30060 0D824978
	v_mfma_f32_16x16x32_fp8_fp8 v[92:95], a[106:107], v[38:39], v[92:95]// 00000000786C: D3F3005C 0D724D6A
	buffer_load_dwordx4 a[72:75], v200, s[16:19], 0 offen      // 000000007874: E05C1000 808448C8
	v_mfma_f32_16x16x32_fp8_fp8 v[96:99], a[122:123], v[38:39], v[96:99]// 00000000787C: D3F30060 0D824D7A
	s_waitcnt lgkmcnt(4)                                       // 000000007884: BF8CC47F
	v_mfma_f32_16x16x32_fp8_fp8 v[92:95], a[108:109], v[40:41], v[92:95]// 000000007888: D3F3005C 0D72516C
	v_mfma_f32_16x16x32_fp8_fp8 v[96:99], a[124:125], v[40:41], v[96:99]// 000000007890: D3F30060 0D82517C
	v_mfma_f32_16x16x32_fp8_fp8 v[92:95], a[110:111], v[42:43], v[92:95]// 000000007898: D3F3005C 0D72556E
	buffer_load_dwordx4 a[76:79], v201, s[16:19], 0 offen      // 0000000078A0: E05C1000 80844CC9
	v_mfma_f32_16x16x32_fp8_fp8 v[96:99], a[126:127], v[42:43], v[96:99]// 0000000078A8: D3F30060 0D82557E
	s_waitcnt lgkmcnt(3)                                       // 0000000078B0: BF8CC37F
	v_mfma_f32_16x16x32_fp8_fp8 v[100:103], a[96:97], v[44:45], 0// 0000000078B4: D3F30064 0A025960
	v_mfma_f32_16x16x32_fp8_fp8 v[104:107], a[112:113], v[44:45], 0// 0000000078BC: D3F30068 0A025970
	v_mfma_f32_16x16x32_fp8_fp8 v[100:103], a[98:99], v[46:47], v[100:103]// 0000000078C4: D3F30064 0D925D62
	buffer_load_dwordx4 a[80:83], v198, s[16:19], 0 offen offset:1024// 0000000078CC: E05C1400 808450C6
	v_mfma_f32_16x16x32_fp8_fp8 v[104:107], a[114:115], v[46:47], v[104:107]// 0000000078D4: D3F30068 0DA25D72
	s_waitcnt lgkmcnt(2)                                       // 0000000078DC: BF8CC27F
	v_mfma_f32_16x16x32_fp8_fp8 v[100:103], a[100:101], v[48:49], v[100:103]// 0000000078E0: D3F30064 0D926164
	v_mfma_f32_16x16x32_fp8_fp8 v[104:107], a[116:117], v[48:49], v[104:107]// 0000000078E8: D3F30068 0DA26174
	v_mfma_f32_16x16x32_fp8_fp8 v[100:103], a[102:103], v[50:51], v[100:103]// 0000000078F0: D3F30064 0D926566
	buffer_load_dwordx4 a[84:87], v199, s[16:19], 0 offen offset:1024// 0000000078F8: E05C1400 808454C7
	v_mfma_f32_16x16x32_fp8_fp8 v[104:107], a[118:119], v[50:51], v[104:107]// 000000007900: D3F30068 0DA26576
	s_waitcnt lgkmcnt(1)                                       // 000000007908: BF8CC17F
	v_mfma_f32_16x16x32_fp8_fp8 v[100:103], a[104:105], v[52:53], v[100:103]// 00000000790C: D3F30064 0D926968
	v_mfma_f32_16x16x32_fp8_fp8 v[104:107], a[120:121], v[52:53], v[104:107]// 000000007914: D3F30068 0DA26978
	v_mfma_f32_16x16x32_fp8_fp8 v[100:103], a[106:107], v[54:55], v[100:103]// 00000000791C: D3F30064 0D926D6A
	buffer_load_dwordx4 a[88:91], v200, s[16:19], 0 offen offset:1024// 000000007924: E05C1400 808458C8
	v_mfma_f32_16x16x32_fp8_fp8 v[104:107], a[122:123], v[54:55], v[104:107]// 00000000792C: D3F30068 0DA26D7A
	s_waitcnt lgkmcnt(0)                                       // 000000007934: BF8CC07F
	v_mfma_f32_16x16x32_fp8_fp8 v[100:103], a[108:109], v[56:57], v[100:103]// 000000007938: D3F30064 0D92716C
	v_mfma_f32_16x16x32_fp8_fp8 v[104:107], a[124:125], v[56:57], v[104:107]// 000000007940: D3F30068 0DA2717C
	v_mfma_f32_16x16x32_fp8_fp8 v[100:103], a[110:111], v[58:59], v[100:103]// 000000007948: D3F30064 0D92756E
	buffer_load_dwordx4 a[92:95], v201, s[16:19], 0 offen offset:1024// 000000007950: E05C1400 80845CC9
	v_mfma_f32_16x16x32_fp8_fp8 v[104:107], a[126:127], v[58:59], v[104:107]// 000000007958: D3F30068 0DA2757E
	s_addk_i32 s49, 0x100                                      // 000000007960: B7310100
	s_cmp_lt_i32 s49, s50                                      // 000000007964: BF043231
	s_cbranch_scc0 label_24F6                                  // 000000007968: BF840EDB
	s_waitcnt vmcnt(10)                                        // 00000000796C: BF8C0F7A
	v_mfma_f32_16x16x32_fp8_fp8 v[28:31], a[0:1], v[12:13], 0  // 000000007970: D3F3001C 0A021900
	s_add_u32 s12, s84, s64                                    // 000000007978: 800C4054
	s_addc_u32 s13, s85, 0                                     // 00000000797C: 820D8055
	v_mfma_f32_16x16x32_fp8_fp8 v[28:31], a[2:3], v[14:15], v[28:31]// 000000007980: D3F3001C 0C721D02
	s_add_u32 s16, s86, s65                                    // 000000007988: 80104156
	s_addc_u32 s17, s87, 0                                     // 00000000798C: 82118057
	v_mfma_f32_16x16x32_fp8_fp8 v[28:31], a[4:5], v[16:17], v[28:31]// 000000007990: D3F3001C 0C722104
	buffer_load_dwordx4 a[32:35], v196, s[12:15], 0 offen      // 000000007998: E05C1000 808320C4
	v_mfma_f32_16x16x32_fp8_fp8 v[28:31], a[6:7], v[18:19], v[28:31]// 0000000079A0: D3F3001C 0C722506
	s_add_u32 s28, s88, s66                                    // 0000000079A8: 801C4258
	s_addc_u32 s29, s89, 0                                     // 0000000079AC: 821D8059
	v_mfma_f32_16x16x32_fp8_fp8 v[32:35], a[8:9], v[12:13], 0  // 0000000079B0: D3F30020 0A021908
	s_add_u32 s32, s90, s66                                    // 0000000079B8: 8020425A
	s_addc_u32 s33, s91, 0                                     // 0000000079BC: 8221805B
	v_mfma_f32_16x16x32_fp8_fp8 v[32:35], a[10:11], v[14:15], v[32:35]// 0000000079C0: D3F30020 0C821D0A
	s_mul_i32 s64, s61, s56                                    // 0000000079C8: 9240383D
	s_mov_b32 s65, s64                                         // 0000000079CC: BEC10040
	v_mfma_f32_16x16x32_fp8_fp8 v[32:35], a[12:13], v[16:17], v[32:35]// 0000000079D0: D3F30020 0C82210C
	buffer_load_dwordx4 a[36:39], v197, s[12:15], 0 offen      // 0000000079D8: E05C1000 808324C5
	v_mfma_f32_16x16x32_fp8_fp8 v[32:35], a[14:15], v[18:19], v[32:35]// 0000000079E0: D3F30020 0C82250E
	s_mul_i32 s66, s61, s58                                    // 0000000079E8: 92423A3D
	v_mfma_f32_16x16x32_fp8_fp8 v[36:39], a[16:17], v[12:13], 0// 0000000079EC: D3F30024 0A021910
	v_mfma_f32_16x16x32_fp8_fp8 v[36:39], a[18:19], v[14:15], v[36:39]// 0000000079F4: D3F30024 0C921D12
	v_mfma_f32_16x16x32_fp8_fp8 v[36:39], a[20:21], v[16:17], v[36:39]// 0000000079FC: D3F30024 0C922114
	buffer_load_dwordx4 a[40:43], v196, s[12:15], 0 offen offset:1024// 000000007A04: E05C1400 808328C4
	v_mfma_f32_16x16x32_fp8_fp8 v[36:39], a[22:23], v[18:19], v[36:39]// 000000007A0C: D3F30024 0C922516
	v_mfma_f32_16x16x32_fp8_fp8 v[40:43], a[24:25], v[12:13], 0// 000000007A14: D3F30028 0A021918
	v_mfma_f32_16x16x32_fp8_fp8 v[40:43], a[26:27], v[14:15], v[40:43]// 000000007A1C: D3F30028 0CA21D1A
	v_mfma_f32_16x16x32_fp8_fp8 v[40:43], a[28:29], v[16:17], v[40:43]// 000000007A24: D3F30028 0CA2211C
	buffer_load_dwordx4 a[44:47], v197, s[12:15], 0 offen offset:1024// 000000007A2C: E05C1400 80832CC5
	v_mfma_f32_16x16x32_fp8_fp8 v[40:43], a[30:31], v[18:19], v[40:43]// 000000007A34: D3F30028 0CA2251E
	v_mfma_f32_16x16x32_fp8_fp8 v[44:47], a[0:1], v[20:21], 0  // 000000007A3C: D3F3002C 0A022900
	v_mfma_f32_16x16x32_fp8_fp8 v[44:47], a[2:3], v[22:23], v[44:47]// 000000007A44: D3F3002C 0CB22D02
	v_mfma_f32_16x16x32_fp8_fp8 v[44:47], a[4:5], v[24:25], v[44:47]// 000000007A4C: D3F3002C 0CB23104
	buffer_load_dwordx4 a[48:51], v196, s[12:15], 0 offen offset:2048// 000000007A54: E05C1800 808330C4
	v_mfma_f32_16x16x32_fp8_fp8 v[44:47], a[6:7], v[26:27], v[44:47]// 000000007A5C: D3F3002C 0CB23506
	v_mfma_f32_16x16x32_fp8_fp8 v[48:51], a[8:9], v[20:21], 0  // 000000007A64: D3F30030 0A022908
	v_mfma_f32_16x16x32_fp8_fp8 v[48:51], a[10:11], v[22:23], v[48:51]// 000000007A6C: D3F30030 0CC22D0A
	v_mfma_f32_16x16x32_fp8_fp8 v[48:51], a[12:13], v[24:25], v[48:51]// 000000007A74: D3F30030 0CC2310C
	buffer_load_dwordx4 a[52:55], v197, s[12:15], 0 offen offset:2048// 000000007A7C: E05C1800 808334C5
	v_mfma_f32_16x16x32_fp8_fp8 v[48:51], a[14:15], v[26:27], v[48:51]// 000000007A84: D3F30030 0CC2350E
	v_mfma_f32_16x16x32_fp8_fp8 v[52:55], a[16:17], v[20:21], 0// 000000007A8C: D3F30034 0A022910
	v_mfma_f32_16x16x32_fp8_fp8 v[52:55], a[18:19], v[22:23], v[52:55]// 000000007A94: D3F30034 0CD22D12
	v_mfma_f32_16x16x32_fp8_fp8 v[52:55], a[20:21], v[24:25], v[52:55]// 000000007A9C: D3F30034 0CD23114
	buffer_load_dwordx4 a[56:59], v196, s[12:15], 0 offen offset:3072// 000000007AA4: E05C1C00 808338C4
	v_mfma_f32_16x16x32_fp8_fp8 v[52:55], a[22:23], v[26:27], v[52:55]// 000000007AAC: D3F30034 0CD23516
	v_mfma_f32_16x16x32_fp8_fp8 v[56:59], a[24:25], v[20:21], 0// 000000007AB4: D3F30038 0A022918
	v_mfma_f32_16x16x32_fp8_fp8 v[56:59], a[26:27], v[22:23], v[56:59]// 000000007ABC: D3F30038 0CE22D1A
	v_mfma_f32_16x16x32_fp8_fp8 v[56:59], a[28:29], v[24:25], v[56:59]// 000000007AC4: D3F30038 0CE2311C
	buffer_load_dwordx4 a[60:63], v197, s[12:15], 0 offen offset:3072// 000000007ACC: E05C1C00 80833CC5
	v_mfma_f32_16x16x32_fp8_fp8 v[56:59], a[30:31], v[26:27], v[56:59]// 000000007AD4: D3F30038 0CE2351E
	s_waitcnt vmcnt(16)                                        // 000000007ADC: BF8C4F70
	v_pk_mul_f32 v[28:29], v[124:125], v[28:29]                // 000000007AE0: D3B1401C 1802397C
	v_pk_mul_f32 v[30:31], v[124:125], v[30:31]                // 000000007AE8: D3B1401E 18023D7C
	v_mul_f32_dpp v28, v128, v28 row_newbcast:0 row_mask:0xf bank_mask:0xf// 000000007AF0: 0A3838FA FF015080
	v_mul_f32_dpp v29, v128, v29 row_newbcast:1 row_mask:0xf bank_mask:0xf// 000000007AF8: 0A3A3AFA FF015180
	v_mul_f32_dpp v30, v128, v30 row_newbcast:2 row_mask:0xf bank_mask:0xf// 000000007B00: 0A3C3CFA FF015280
	v_mul_f32_dpp v31, v128, v31 row_newbcast:3 row_mask:0xf bank_mask:0xf// 000000007B08: 0A3E3EFA FF015380
	v_pk_mul_f32 v[32:33], v[124:125], v[32:33]                // 000000007B10: D3B14020 1802417C
	v_pk_mul_f32 v[34:35], v[124:125], v[34:35]                // 000000007B18: D3B14022 1802457C
	v_mul_f32_dpp v32, v128, v32 row_newbcast:4 row_mask:0xf bank_mask:0xf// 000000007B20: 0A4040FA FF015480
	v_mul_f32_dpp v33, v128, v33 row_newbcast:5 row_mask:0xf bank_mask:0xf// 000000007B28: 0A4242FA FF015580
	v_mul_f32_dpp v34, v128, v34 row_newbcast:6 row_mask:0xf bank_mask:0xf// 000000007B30: 0A4444FA FF015680
	v_mul_f32_dpp v35, v128, v35 row_newbcast:7 row_mask:0xf bank_mask:0xf// 000000007B38: 0A4646FA FF015780
	v_pk_mul_f32 v[36:37], v[124:125], v[36:37]                // 000000007B40: D3B14024 1802497C
	v_pk_mul_f32 v[38:39], v[124:125], v[38:39]                // 000000007B48: D3B14026 18024D7C
	v_mul_f32_dpp v36, v128, v36 row_newbcast:8 row_mask:0xf bank_mask:0xf// 000000007B50: 0A4848FA FF015880
	v_mul_f32_dpp v37, v128, v37 row_newbcast:9 row_mask:0xf bank_mask:0xf// 000000007B58: 0A4A4AFA FF015980
	v_mul_f32_dpp v38, v128, v38 row_newbcast:10 row_mask:0xf bank_mask:0xf// 000000007B60: 0A4C4CFA FF015A80
	v_mul_f32_dpp v39, v128, v39 row_newbcast:11 row_mask:0xf bank_mask:0xf// 000000007B68: 0A4E4EFA FF015B80
	v_pk_mul_f32 v[40:41], v[124:125], v[40:41]                // 000000007B70: D3B14028 1802517C
	v_pk_mul_f32 v[42:43], v[124:125], v[42:43]                // 000000007B78: D3B1402A 1802557C
	v_mul_f32_dpp v40, v128, v40 row_newbcast:12 row_mask:0xf bank_mask:0xf// 000000007B80: 0A5050FA FF015C80
	v_mul_f32_dpp v41, v128, v41 row_newbcast:13 row_mask:0xf bank_mask:0xf// 000000007B88: 0A5252FA FF015D80
	v_mul_f32_dpp v42, v128, v42 row_newbcast:14 row_mask:0xf bank_mask:0xf// 000000007B90: 0A5454FA FF015E80
	v_mul_f32_dpp v43, v128, v43 row_newbcast:15 row_mask:0xf bank_mask:0xf// 000000007B98: 0A5656FA FF015F80
	v_pk_mul_f32 v[44:45], v[126:127], v[44:45]                // 000000007BA0: D3B1402C 1802597E
	v_pk_mul_f32 v[46:47], v[126:127], v[46:47]                // 000000007BA8: D3B1402E 18025D7E
	v_mul_f32_dpp v44, v128, v44 row_newbcast:0 row_mask:0xf bank_mask:0xf// 000000007BB0: 0A5858FA FF015080
	v_mul_f32_dpp v45, v128, v45 row_newbcast:1 row_mask:0xf bank_mask:0xf// 000000007BB8: 0A5A5AFA FF015180
	v_mul_f32_dpp v46, v128, v46 row_newbcast:2 row_mask:0xf bank_mask:0xf// 000000007BC0: 0A5C5CFA FF015280
	v_mul_f32_dpp v47, v128, v47 row_newbcast:3 row_mask:0xf bank_mask:0xf// 000000007BC8: 0A5E5EFA FF015380
	v_pk_mul_f32 v[48:49], v[126:127], v[48:49]                // 000000007BD0: D3B14030 1802617E
	v_pk_mul_f32 v[50:51], v[126:127], v[50:51]                // 000000007BD8: D3B14032 1802657E
	v_mul_f32_dpp v48, v128, v48 row_newbcast:4 row_mask:0xf bank_mask:0xf// 000000007BE0: 0A6060FA FF015480
	v_mul_f32_dpp v49, v128, v49 row_newbcast:5 row_mask:0xf bank_mask:0xf// 000000007BE8: 0A6262FA FF015580
	v_mul_f32_dpp v50, v128, v50 row_newbcast:6 row_mask:0xf bank_mask:0xf// 000000007BF0: 0A6464FA FF015680
	v_mul_f32_dpp v51, v128, v51 row_newbcast:7 row_mask:0xf bank_mask:0xf// 000000007BF8: 0A6666FA FF015780
	v_pk_mul_f32 v[52:53], v[126:127], v[52:53]                // 000000007C00: D3B14034 1802697E
	v_pk_mul_f32 v[54:55], v[126:127], v[54:55]                // 000000007C08: D3B14036 18026D7E
	v_mul_f32_dpp v52, v128, v52 row_newbcast:8 row_mask:0xf bank_mask:0xf// 000000007C10: 0A6868FA FF015880
	v_mul_f32_dpp v53, v128, v53 row_newbcast:9 row_mask:0xf bank_mask:0xf// 000000007C18: 0A6A6AFA FF015980
	v_mul_f32_dpp v54, v128, v54 row_newbcast:10 row_mask:0xf bank_mask:0xf// 000000007C20: 0A6C6CFA FF015A80
	v_mul_f32_dpp v55, v128, v55 row_newbcast:11 row_mask:0xf bank_mask:0xf// 000000007C28: 0A6E6EFA FF015B80
	v_pk_mul_f32 v[56:57], v[126:127], v[56:57]                // 000000007C30: D3B14038 1802717E
	v_pk_mul_f32 v[58:59], v[126:127], v[58:59]                // 000000007C38: D3B1403A 1802757E
	v_mul_f32_dpp v56, v128, v56 row_newbcast:12 row_mask:0xf bank_mask:0xf// 000000007C40: 0A7070FA FF015C80
	v_mul_f32_dpp v57, v128, v57 row_newbcast:13 row_mask:0xf bank_mask:0xf// 000000007C48: 0A7272FA FF015D80
	v_mul_f32_dpp v58, v128, v58 row_newbcast:14 row_mask:0xf bank_mask:0xf// 000000007C50: 0A7474FA FF015E80
	v_mul_f32_dpp v59, v128, v59 row_newbcast:15 row_mask:0xf bank_mask:0xf// 000000007C58: 0A7676FA FF015F80
	v_mov_b32_e32 v146, v28                                    // 000000007C60: 7F24031C
	v_max3_f32 v146, v28, v29, v146                            // 000000007C64: D1D30092 064A3B1C
	v_max3_f32 v146, v30, v31, v146                            // 000000007C6C: D1D30092 064A3F1E
	v_max3_f32 v146, v32, v33, v146                            // 000000007C74: D1D30092 064A4320
	v_max3_f32 v146, v34, v35, v146                            // 000000007C7C: D1D30092 064A4722
	v_max3_f32 v146, v36, v37, v146                            // 000000007C84: D1D30092 064A4B24
	v_max3_f32 v146, v38, v39, v146                            // 000000007C8C: D1D30092 064A4F26
	v_max3_f32 v146, v40, v41, v146                            // 000000007C94: D1D30092 064A5328
	v_max3_f32 v146, v42, v43, v146                            // 000000007C9C: D1D30092 064A572A
	v_mov_b32_e32 v147, v44                                    // 000000007CA4: 7F26032C
	v_max3_f32 v147, v44, v45, v147                            // 000000007CA8: D1D30093 064E5B2C
	v_max3_f32 v147, v46, v47, v147                            // 000000007CB0: D1D30093 064E5F2E
	v_max3_f32 v147, v48, v49, v147                            // 000000007CB8: D1D30093 064E6330
	v_max3_f32 v147, v50, v51, v147                            // 000000007CC0: D1D30093 064E6732
	v_max3_f32 v147, v52, v53, v147                            // 000000007CC8: D1D30093 064E6B34
	v_max3_f32 v147, v54, v55, v147                            // 000000007CD0: D1D30093 064E6F36
	v_max3_f32 v147, v56, v57, v147                            // 000000007CD8: D1D30093 064E7338
	v_max3_f32 v147, v58, v59, v147                            // 000000007CE0: D1D30093 064E773A
	ds_write_b64 v210, v[146:147]                              // 000000007CE8: D89A0000 000092D2
	v_pk_mul_f32 v[108:109], v[140:141], v[108:109]            // 000000007CF0: D3B1406C 1802D98C
	v_pk_mul_f32 v[110:111], v[140:141], v[110:111]            // 000000007CF8: D3B1406E 1802DD8C
	v_pk_mul_f32 v[112:113], v[140:141], v[112:113]            // 000000007D00: D3B14070 1802E18C
	v_pk_mul_f32 v[114:115], v[140:141], v[114:115]            // 000000007D08: D3B14072 1802E58C
	v_pk_mul_f32 v[116:117], v[142:143], v[116:117]            // 000000007D10: D3B14074 1802E98E
	v_pk_mul_f32 v[118:119], v[142:143], v[118:119]            // 000000007D18: D3B14076 1802ED8E
	v_pk_mul_f32 v[120:121], v[142:143], v[120:121]            // 000000007D20: D3B14078 1802F18E
	v_pk_mul_f32 v[122:123], v[142:143], v[122:123]            // 000000007D28: D3B1407A 1802F58E
	s_waitcnt lgkmcnt(0)                                       // 000000007D30: BF8CC07F
	s_barrier                                                  // 000000007D34: BF8A0000
	v_pk_mul_f32 v[92:93], v[132:133], v[92:93]                // 000000007D38: D3B1405C 1802B984
	v_pk_mul_f32 v[94:95], v[132:133], v[94:95]                // 000000007D40: D3B1405E 1802BD84
	v_pk_mul_f32 v[96:97], v[132:133], v[96:97]                // 000000007D48: D3B14060 1802C184
	v_pk_mul_f32 v[98:99], v[132:133], v[98:99]                // 000000007D50: D3B14062 1802C584
	v_pk_mul_f32 v[100:101], v[134:135], v[100:101]            // 000000007D58: D3B14064 1802C986
	v_pk_mul_f32 v[102:103], v[134:135], v[102:103]            // 000000007D60: D3B14066 1802CD86
	v_pk_mul_f32 v[104:105], v[134:135], v[104:105]            // 000000007D68: D3B14068 1802D186
	v_pk_mul_f32 v[106:107], v[134:135], v[106:107]            // 000000007D70: D3B1406A 1802D586
	ds_read_b64 v[148:149], v211                               // 000000007D78: D8EC0000 940000D3
	ds_read_b64 v[150:151], v211 offset:128                    // 000000007D80: D8EC0080 960000D3
	ds_read_b64 v[152:153], v211 offset:256                    // 000000007D88: D8EC0100 980000D3
	ds_read_b64 v[154:155], v211 offset:384                    // 000000007D90: D8EC0180 9A0000D3
	ds_read_b64 v[156:157], v211 offset:512                    // 000000007D98: D8EC0200 9C0000D3
	ds_read_b64 v[158:159], v211 offset:640                    // 000000007DA0: D8EC0280 9E0000D3
	ds_read_b64 v[160:161], v211 offset:768                    // 000000007DA8: D8EC0300 A00000D3
	ds_read_b64 v[162:163], v211 offset:896                    // 000000007DB0: D8EC0380 A20000D3
	ds_read_b64 v[164:165], v211 offset:1024                   // 000000007DB8: D8EC0400 A40000D3
	ds_read_b64 v[166:167], v211 offset:1152                   // 000000007DC0: D8EC0480 A60000D3
	ds_read_b64 v[168:169], v211 offset:1280                   // 000000007DC8: D8EC0500 A80000D3
	ds_read_b64 v[170:171], v211 offset:1408                   // 000000007DD0: D8EC0580 AA0000D3
	ds_read_b64 v[172:173], v211 offset:1536                   // 000000007DD8: D8EC0600 AC0000D3
	ds_read_b64 v[174:175], v211 offset:1664                   // 000000007DE0: D8EC0680 AE0000D3
	ds_read_b64 v[176:177], v211 offset:1792                   // 000000007DE8: D8EC0700 B00000D3
	ds_read_b64 v[178:179], v211 offset:1920                   // 000000007DF0: D8EC0780 B20000D3
	s_waitcnt lgkmcnt(0)                                       // 000000007DF8: BF8CC07F
	v_max3_f32 v146, v148, v150, v146                          // 000000007DFC: D1D30092 064B2D94
	v_max3_f32 v147, v149, v151, v147                          // 000000007E04: D1D30093 064F2F95
	v_max3_f32 v146, v152, v154, v146                          // 000000007E0C: D1D30092 064B3598
	v_max3_f32 v147, v153, v155, v147                          // 000000007E14: D1D30093 064F3799
	v_max3_f32 v146, v156, v158, v146                          // 000000007E1C: D1D30092 064B3D9C
	v_max3_f32 v147, v157, v159, v147                          // 000000007E24: D1D30093 064F3F9D
	v_max3_f32 v146, v160, v162, v146                          // 000000007E2C: D1D30092 064B45A0
	v_max3_f32 v147, v161, v163, v147                          // 000000007E34: D1D30093 064F47A1
	v_max3_f32 v146, v164, v166, v146                          // 000000007E3C: D1D30092 064B4DA4
	v_max3_f32 v147, v165, v167, v147                          // 000000007E44: D1D30093 064F4FA5
	v_max3_f32 v146, v168, v170, v146                          // 000000007E4C: D1D30092 064B55A8
	v_max3_f32 v147, v169, v171, v147                          // 000000007E54: D1D30093 064F57A9
	v_max3_f32 v146, v172, v174, v146                          // 000000007E5C: D1D30092 064B5DAC
	v_max3_f32 v147, v173, v175, v147                          // 000000007E64: D1D30093 064F5FAD
	v_max3_f32 v146, v176, v178, v146                          // 000000007E6C: D1D30092 064B65B0
	v_max3_f32 v147, v177, v179, v147                          // 000000007E74: D1D30093 064F67B1
	v_max_f32_e32 v138, v146, v136                             // 000000007E7C: 17151192
	v_mul_f32_e64 v180, -s51, v138                             // 000000007E80: D10500B4 20031433
	v_mov_b32_e32 v181, v180                                   // 000000007E88: 7F6A03B4
	v_pk_fma_f32 v[28:29], v[28:29], s[68:69], v[180:181]      // 000000007E8C: D3B0401C 1ED0891C
	v_pk_fma_f32 v[30:31], v[30:31], s[68:69], v[180:181]      // 000000007E94: D3B0401E 1ED0891E
	v_exp_f32_e32 v28, v28                                     // 000000007E9C: 7E38411C
	v_exp_f32_e32 v29, v29                                     // 000000007EA0: 7E3A411D
	v_exp_f32_e32 v30, v30                                     // 000000007EA4: 7E3C411E
	v_exp_f32_e32 v31, v31                                     // 000000007EA8: 7E3E411F
	v_pk_fma_f32 v[32:33], v[32:33], s[68:69], v[180:181]      // 000000007EAC: D3B04020 1ED08920
	v_pk_fma_f32 v[34:35], v[34:35], s[68:69], v[180:181]      // 000000007EB4: D3B04022 1ED08922
	v_exp_f32_e32 v32, v32                                     // 000000007EBC: 7E404120
	v_exp_f32_e32 v33, v33                                     // 000000007EC0: 7E424121
	v_exp_f32_e32 v34, v34                                     // 000000007EC4: 7E444122
	v_exp_f32_e32 v35, v35                                     // 000000007EC8: 7E464123
	v_pk_fma_f32 v[36:37], v[36:37], s[68:69], v[180:181]      // 000000007ECC: D3B04024 1ED08924
	v_pk_fma_f32 v[38:39], v[38:39], s[68:69], v[180:181]      // 000000007ED4: D3B04026 1ED08926
	v_exp_f32_e32 v36, v36                                     // 000000007EDC: 7E484124
	v_exp_f32_e32 v37, v37                                     // 000000007EE0: 7E4A4125
	v_exp_f32_e32 v38, v38                                     // 000000007EE4: 7E4C4126
	v_exp_f32_e32 v39, v39                                     // 000000007EE8: 7E4E4127
	v_pk_fma_f32 v[40:41], v[40:41], s[68:69], v[180:181]      // 000000007EEC: D3B04028 1ED08928
	v_pk_fma_f32 v[42:43], v[42:43], s[68:69], v[180:181]      // 000000007EF4: D3B0402A 1ED0892A
	v_exp_f32_e32 v40, v40                                     // 000000007EFC: 7E504128
	v_exp_f32_e32 v41, v41                                     // 000000007F00: 7E524129
	v_exp_f32_e32 v42, v42                                     // 000000007F04: 7E54412A
	v_exp_f32_e32 v43, v43                                     // 000000007F08: 7E56412B
	v_max_f32_e32 v139, v147, v137                             // 000000007F0C: 17171393
	v_mul_f32_e64 v180, -s51, v139                             // 000000007F10: D10500B4 20031633
	v_mov_b32_e32 v181, v180                                   // 000000007F18: 7F6A03B4
	v_pk_fma_f32 v[44:45], v[44:45], s[68:69], v[180:181]      // 000000007F1C: D3B0402C 1ED0892C
	v_pk_fma_f32 v[46:47], v[46:47], s[68:69], v[180:181]      // 000000007F24: D3B0402E 1ED0892E
	v_exp_f32_e32 v44, v44                                     // 000000007F2C: 7E58412C
	v_exp_f32_e32 v45, v45                                     // 000000007F30: 7E5A412D
	v_exp_f32_e32 v46, v46                                     // 000000007F34: 7E5C412E
	v_exp_f32_e32 v47, v47                                     // 000000007F38: 7E5E412F
	v_pk_fma_f32 v[48:49], v[48:49], s[68:69], v[180:181]      // 000000007F3C: D3B04030 1ED08930
	v_pk_fma_f32 v[50:51], v[50:51], s[68:69], v[180:181]      // 000000007F44: D3B04032 1ED08932
	v_exp_f32_e32 v48, v48                                     // 000000007F4C: 7E604130
	v_exp_f32_e32 v49, v49                                     // 000000007F50: 7E624131
	v_exp_f32_e32 v50, v50                                     // 000000007F54: 7E644132
	v_exp_f32_e32 v51, v51                                     // 000000007F58: 7E664133
	v_pk_fma_f32 v[52:53], v[52:53], s[68:69], v[180:181]      // 000000007F5C: D3B04034 1ED08934
	v_pk_fma_f32 v[54:55], v[54:55], s[68:69], v[180:181]      // 000000007F64: D3B04036 1ED08936
	v_exp_f32_e32 v52, v52                                     // 000000007F6C: 7E684134
	v_exp_f32_e32 v53, v53                                     // 000000007F70: 7E6A4135
	v_exp_f32_e32 v54, v54                                     // 000000007F74: 7E6C4136
	v_exp_f32_e32 v55, v55                                     // 000000007F78: 7E6E4137
	v_pk_fma_f32 v[56:57], v[56:57], s[68:69], v[180:181]      // 000000007F7C: D3B04038 1ED08938
	v_pk_fma_f32 v[58:59], v[58:59], s[68:69], v[180:181]      // 000000007F84: D3B0403A 1ED0893A
	v_exp_f32_e32 v56, v56                                     // 000000007F8C: 7E704138
	v_exp_f32_e32 v57, v57                                     // 000000007F90: 7E724139
	v_exp_f32_e32 v58, v58                                     // 000000007F94: 7E74413A
	v_exp_f32_e32 v59, v59                                     // 000000007F98: 7E76413B
	v_mul_f32_dpp v60, v130, v28 row_newbcast:0 row_mask:0xf bank_mask:0xf// 000000007F9C: 0A7838FA FF015082
	v_mul_f32_dpp v61, v130, v29 row_newbcast:1 row_mask:0xf bank_mask:0xf// 000000007FA4: 0A7A3AFA FF015182
	v_mul_f32_dpp v62, v130, v30 row_newbcast:2 row_mask:0xf bank_mask:0xf// 000000007FAC: 0A7C3CFA FF015282
	v_mul_f32_dpp v63, v130, v31 row_newbcast:3 row_mask:0xf bank_mask:0xf// 000000007FB4: 0A7E3EFA FF015382
	v_mul_f32_dpp v64, v130, v32 row_newbcast:4 row_mask:0xf bank_mask:0xf// 000000007FBC: 0A8040FA FF015482
	v_mul_f32_dpp v65, v130, v33 row_newbcast:5 row_mask:0xf bank_mask:0xf// 000000007FC4: 0A8242FA FF015582
	v_mul_f32_dpp v66, v130, v34 row_newbcast:6 row_mask:0xf bank_mask:0xf// 000000007FCC: 0A8444FA FF015682
	v_mul_f32_dpp v67, v130, v35 row_newbcast:7 row_mask:0xf bank_mask:0xf// 000000007FD4: 0A8646FA FF015782
	v_mul_f32_dpp v68, v130, v36 row_newbcast:8 row_mask:0xf bank_mask:0xf// 000000007FDC: 0A8848FA FF015882
	v_mul_f32_dpp v69, v130, v37 row_newbcast:9 row_mask:0xf bank_mask:0xf// 000000007FE4: 0A8A4AFA FF015982
	v_mul_f32_dpp v70, v130, v38 row_newbcast:10 row_mask:0xf bank_mask:0xf// 000000007FEC: 0A8C4CFA FF015A82
	v_mul_f32_dpp v71, v130, v39 row_newbcast:11 row_mask:0xf bank_mask:0xf// 000000007FF4: 0A8E4EFA FF015B82
	v_mul_f32_dpp v72, v130, v40 row_newbcast:12 row_mask:0xf bank_mask:0xf// 000000007FFC: 0A9050FA FF015C82
	v_mul_f32_dpp v73, v130, v41 row_newbcast:13 row_mask:0xf bank_mask:0xf// 000000008004: 0A9252FA FF015D82
	v_mul_f32_dpp v74, v130, v42 row_newbcast:14 row_mask:0xf bank_mask:0xf// 00000000800C: 0A9454FA FF015E82
	v_mul_f32_dpp v75, v130, v43 row_newbcast:15 row_mask:0xf bank_mask:0xf// 000000008014: 0A9656FA FF015F82
	v_mul_f32_dpp v76, v130, v44 row_newbcast:0 row_mask:0xf bank_mask:0xf// 00000000801C: 0A9858FA FF015082
	v_mul_f32_dpp v77, v130, v45 row_newbcast:1 row_mask:0xf bank_mask:0xf// 000000008024: 0A9A5AFA FF015182
	v_mul_f32_dpp v78, v130, v46 row_newbcast:2 row_mask:0xf bank_mask:0xf// 00000000802C: 0A9C5CFA FF015282
	v_mul_f32_dpp v79, v130, v47 row_newbcast:3 row_mask:0xf bank_mask:0xf// 000000008034: 0A9E5EFA FF015382
	v_mul_f32_dpp v80, v130, v48 row_newbcast:4 row_mask:0xf bank_mask:0xf// 00000000803C: 0AA060FA FF015482
	v_mul_f32_dpp v81, v130, v49 row_newbcast:5 row_mask:0xf bank_mask:0xf// 000000008044: 0AA262FA FF015582
	v_mul_f32_dpp v82, v130, v50 row_newbcast:6 row_mask:0xf bank_mask:0xf// 00000000804C: 0AA464FA FF015682
	v_mul_f32_dpp v83, v130, v51 row_newbcast:7 row_mask:0xf bank_mask:0xf// 000000008054: 0AA666FA FF015782
	v_mul_f32_dpp v84, v130, v52 row_newbcast:8 row_mask:0xf bank_mask:0xf// 00000000805C: 0AA868FA FF015882
	v_mul_f32_dpp v85, v130, v53 row_newbcast:9 row_mask:0xf bank_mask:0xf// 000000008064: 0AAA6AFA FF015982
	v_mul_f32_dpp v86, v130, v54 row_newbcast:10 row_mask:0xf bank_mask:0xf// 00000000806C: 0AAC6CFA FF015A82
	v_mul_f32_dpp v87, v130, v55 row_newbcast:11 row_mask:0xf bank_mask:0xf// 000000008074: 0AAE6EFA FF015B82
	v_mul_f32_dpp v88, v130, v56 row_newbcast:12 row_mask:0xf bank_mask:0xf// 00000000807C: 0AB070FA FF015C82
	v_mul_f32_dpp v89, v130, v57 row_newbcast:13 row_mask:0xf bank_mask:0xf// 000000008084: 0AB272FA FF015D82
	v_mul_f32_dpp v90, v130, v58 row_newbcast:14 row_mask:0xf bank_mask:0xf// 00000000808C: 0AB474FA FF015E82
	v_mul_f32_dpp v91, v130, v59 row_newbcast:15 row_mask:0xf bank_mask:0xf// 000000008094: 0AB676FA FF015F82
	v_mov_b32_e32 v146, 0x358637bd                             // 00000000809C: 7F2402FF 358637BD
	v_max3_f32 v146, |v60|, |v61|, v146                        // 0000000080A4: D1D30392 064A7B3C
	v_max3_f32 v146, |v62|, |v63|, v146                        // 0000000080AC: D1D30392 064A7F3E
	v_max3_f32 v146, |v64|, |v65|, v146                        // 0000000080B4: D1D30392 064A8340
	v_max3_f32 v146, |v66|, |v67|, v146                        // 0000000080BC: D1D30392 064A8742
	v_max3_f32 v146, |v68|, |v69|, v146                        // 0000000080C4: D1D30392 064A8B44
	v_max3_f32 v146, |v70|, |v71|, v146                        // 0000000080CC: D1D30392 064A8F46
	v_max3_f32 v146, |v72|, |v73|, v146                        // 0000000080D4: D1D30392 064A9348
	v_max3_f32 v146, |v74|, |v75|, v146                        // 0000000080DC: D1D30392 064A974A
	v_mov_b32_e32 v147, 0x358637bd                             // 0000000080E4: 7F2602FF 358637BD
	v_max3_f32 v147, |v76|, |v77|, v147                        // 0000000080EC: D1D30393 064E9B4C
	v_max3_f32 v147, |v78|, |v79|, v147                        // 0000000080F4: D1D30393 064E9F4E
	v_max3_f32 v147, |v80|, |v81|, v147                        // 0000000080FC: D1D30393 064EA350
	v_max3_f32 v147, |v82|, |v83|, v147                        // 000000008104: D1D30393 064EA752
	v_max3_f32 v147, |v84|, |v85|, v147                        // 00000000810C: D1D30393 064EAB54
	v_max3_f32 v147, |v86|, |v87|, v147                        // 000000008114: D1D30393 064EAF56
	v_max3_f32 v147, |v88|, |v89|, v147                        // 00000000811C: D1D30393 064EB358
	v_max3_f32 v147, |v90|, |v91|, v147                        // 000000008124: D1D30393 064EB75A
	ds_write_b64 v210, v[146:147] offset:2304                  // 00000000812C: D89A0900 000092D2
	buffer_load_dword v129, v202, s[28:31], 0 offen            // 000000008134: E0501000 800781CA
	v_sub_f32_e32 v140, v136, v138                             // 00000000813C: 05191588
	v_cmp_eq_u32_e64 s[92:93], v191, v136                      // 000000008140: D0CA005C 000311BF
	s_nop 0                                                    // 000000008148: BF800000
	v_cndmask_b32_e64 v140, v140, 0, s[92:93]                  // 00000000814C: D100008C 0171018C
	v_mov_b32_e32 v136, v138                                   // 000000008154: 7F10038A
	v_mul_f32_e32 v140, s51, v140                              // 000000008158: 0B191833
	v_exp_f32_e32 v140, v140                                   // 00000000815C: 7F18418C
	v_sub_f32_e32 v142, v137, v139                             // 000000008160: 051D1789
	v_cmp_eq_u32_e64 s[92:93], v191, v137                      // 000000008164: D0CA005C 000313BF
	s_nop 0                                                    // 00000000816C: BF800000
	v_cndmask_b32_e64 v142, v142, 0, s[92:93]                  // 000000008170: D100008E 0171018E
	v_mov_b32_e32 v137, v139                                   // 000000008178: 7F12038B
	v_mul_f32_e32 v142, s51, v142                              // 00000000817C: 0B1D1C33
	v_exp_f32_e32 v142, v142                                   // 000000008180: 7F1C418E
	v_mov_b32_e32 v141, v140                                   // 000000008184: 7F1A038C
	v_mov_b32_e32 v143, v142                                   // 000000008188: 7F1E038E
	buffer_load_dword v131, v203, s[32:35], 0 offen            // 00000000818C: E0501000 800883CB
	s_waitcnt lgkmcnt(0)                                       // 000000008194: BF8CC07F
	s_barrier                                                  // 000000008198: BF8A0000
	v_mul_f32_e32 v144, v140, v144                             // 00000000819C: 0B21218C
	v_add_f32_e32 v144, v28, v144                              // 0000000081A0: 0321211C
	v_add_f32_e32 v144, v29, v144                              // 0000000081A4: 0321211D
	v_add_f32_e32 v144, v30, v144                              // 0000000081A8: 0321211E
	v_add_f32_e32 v144, v31, v144                              // 0000000081AC: 0321211F
	v_add_f32_e32 v144, v32, v144                              // 0000000081B0: 03212120
	v_add_f32_e32 v144, v33, v144                              // 0000000081B4: 03212121
	v_add_f32_e32 v144, v34, v144                              // 0000000081B8: 03212122
	v_add_f32_e32 v144, v35, v144                              // 0000000081BC: 03212123
	v_add_f32_e32 v144, v36, v144                              // 0000000081C0: 03212124
	v_add_f32_e32 v144, v37, v144                              // 0000000081C4: 03212125
	v_add_f32_e32 v144, v38, v144                              // 0000000081C8: 03212126
	v_add_f32_e32 v144, v39, v144                              // 0000000081CC: 03212127
	v_add_f32_e32 v144, v40, v144                              // 0000000081D0: 03212128
	v_add_f32_e32 v144, v41, v144                              // 0000000081D4: 03212129
	v_add_f32_e32 v144, v42, v144                              // 0000000081D8: 0321212A
	v_add_f32_e32 v144, v43, v144                              // 0000000081DC: 0321212B
	v_mul_f32_e32 v145, v142, v145                             // 0000000081E0: 0B23238E
	v_add_f32_e32 v145, v44, v145                              // 0000000081E4: 0323232C
	v_add_f32_e32 v145, v45, v145                              // 0000000081E8: 0323232D
	v_add_f32_e32 v145, v46, v145                              // 0000000081EC: 0323232E
	v_add_f32_e32 v145, v47, v145                              // 0000000081F0: 0323232F
	v_add_f32_e32 v145, v48, v145                              // 0000000081F4: 03232330
	v_add_f32_e32 v145, v49, v145                              // 0000000081F8: 03232331
	v_add_f32_e32 v145, v50, v145                              // 0000000081FC: 03232332
	v_add_f32_e32 v145, v51, v145                              // 000000008200: 03232333
	v_add_f32_e32 v145, v52, v145                              // 000000008204: 03232334
	;; [unrolled: 1-line block ×3, first 2 shown]
	v_add_f32_e32 v145, v54, v145                              // 00000000820C: 03232336
	v_add_f32_e32 v145, v55, v145                              // 000000008210: 03232337
	v_add_f32_e32 v145, v56, v145                              // 000000008214: 03232338
	v_add_f32_e32 v145, v57, v145                              // 000000008218: 03232339
	v_add_f32_e32 v145, v58, v145                              // 00000000821C: 0323233A
	v_add_f32_e32 v145, v59, v145                              // 000000008220: 0323233B
	ds_read_b64 v[148:149], v211 offset:2304                   // 000000008224: D8EC0900 940000D3
	ds_read_b64 v[150:151], v211 offset:2432                   // 00000000822C: D8EC0980 960000D3
	ds_read_b64 v[152:153], v211 offset:2560                   // 000000008234: D8EC0A00 980000D3
	ds_read_b64 v[154:155], v211 offset:2688                   // 00000000823C: D8EC0A80 9A0000D3
	ds_read_b64 v[156:157], v211 offset:2816                   // 000000008244: D8EC0B00 9C0000D3
	ds_read_b64 v[158:159], v211 offset:2944                   // 00000000824C: D8EC0B80 9E0000D3
	ds_read_b64 v[160:161], v211 offset:3072                   // 000000008254: D8EC0C00 A00000D3
	ds_read_b64 v[162:163], v211 offset:3200                   // 00000000825C: D8EC0C80 A20000D3
	ds_read_b64 v[164:165], v211 offset:3328                   // 000000008264: D8EC0D00 A40000D3
	ds_read_b64 v[166:167], v211 offset:3456                   // 00000000826C: D8EC0D80 A60000D3
	ds_read_b64 v[168:169], v211 offset:3584                   // 000000008274: D8EC0E00 A80000D3
	ds_read_b64 v[170:171], v211 offset:3712                   // 00000000827C: D8EC0E80 AA0000D3
	ds_read_b64 v[172:173], v211 offset:3840                   // 000000008284: D8EC0F00 AC0000D3
	ds_read_b64 v[174:175], v211 offset:3968                   // 00000000828C: D8EC0F80 AE0000D3
	ds_read_b64 v[176:177], v211 offset:4096                   // 000000008294: D8EC1000 B00000D3
	ds_read_b64 v[178:179], v211 offset:4224                   // 00000000829C: D8EC1080 B20000D3
	s_waitcnt lgkmcnt(0)                                       // 0000000082A4: BF8CC07F
	v_max3_f32 v146, v148, v150, v146                          // 0000000082A8: D1D30092 064B2D94
	v_max3_f32 v147, v149, v151, v147                          // 0000000082B0: D1D30093 064F2F95
	v_max3_f32 v146, v152, v154, v146                          // 0000000082B8: D1D30092 064B3598
	v_max3_f32 v147, v153, v155, v147                          // 0000000082C0: D1D30093 064F3799
	v_max3_f32 v146, v156, v158, v146                          // 0000000082C8: D1D30092 064B3D9C
	v_max3_f32 v147, v157, v159, v147                          // 0000000082D0: D1D30093 064F3F9D
	v_max3_f32 v146, v160, v162, v146                          // 0000000082D8: D1D30092 064B45A0
	v_max3_f32 v147, v161, v163, v147                          // 0000000082E0: D1D30093 064F47A1
	v_max3_f32 v146, v164, v166, v146                          // 0000000082E8: D1D30092 064B4DA4
	v_max3_f32 v147, v165, v167, v147                          // 0000000082F0: D1D30093 064F4FA5
	v_max3_f32 v146, v168, v170, v146                          // 0000000082F8: D1D30092 064B55A8
	v_max3_f32 v147, v169, v171, v147                          // 000000008300: D1D30093 064F57A9
	v_max3_f32 v146, v172, v174, v146                          // 000000008308: D1D30092 064B5DAC
	v_max3_f32 v147, v173, v175, v147                          // 000000008310: D1D30093 064F5FAD
	v_max3_f32 v146, v176, v178, v146                          // 000000008318: D1D30092 064B65B0
	v_max3_f32 v147, v177, v179, v147                          // 000000008320: D1D30093 064F67B1
	v_rcp_f32_e32 v146, v146                                   // 000000008328: 7F244592
	v_rcp_f32_e32 v147, v147                                   // 00000000832C: 7F264593
	v_mul_f32_e32 v146, 0x43700000, v146                       // 000000008330: 0B2524FF 43700000
	v_mul_f32_e32 v147, 0x43700000, v147                       // 000000008338: 0B2726FF 43700000
	v_mul_f32_e32 v28, v146, v60                               // 000000008340: 0A387992
	v_mul_f32_e32 v29, v146, v61                               // 000000008344: 0A3A7B92
	v_mul_f32_e32 v30, v146, v62                               // 000000008348: 0A3C7D92
	v_mul_f32_e32 v31, v146, v63                               // 00000000834C: 0A3E7F92
	v_mul_f32_e32 v32, v146, v64                               // 000000008350: 0A408192
	v_mul_f32_e32 v33, v146, v65                               // 000000008354: 0A428392
	v_mul_f32_e32 v34, v146, v66                               // 000000008358: 0A448592
	v_mul_f32_e32 v35, v146, v67                               // 00000000835C: 0A468792
	v_mul_f32_e32 v36, v146, v68                               // 000000008360: 0A488992
	v_mul_f32_e32 v37, v146, v69                               // 000000008364: 0A4A8B92
	v_mul_f32_e32 v38, v146, v70                               // 000000008368: 0A4C8D92
	v_mul_f32_e32 v39, v146, v71                               // 00000000836C: 0A4E8F92
	v_mul_f32_e32 v40, v146, v72                               // 000000008370: 0A509192
	v_mul_f32_e32 v41, v146, v73                               // 000000008374: 0A529392
	v_mul_f32_e32 v42, v146, v74                               // 000000008378: 0A549592
	v_mul_f32_e32 v43, v146, v75                               // 00000000837C: 0A569792
	v_mul_f32_e32 v44, v147, v76                               // 000000008380: 0A589993
	v_mul_f32_e32 v45, v147, v77                               // 000000008384: 0A5A9B93
	v_mul_f32_e32 v46, v147, v78                               // 000000008388: 0A5C9D93
	v_mul_f32_e32 v47, v147, v79                               // 00000000838C: 0A5E9F93
	v_mul_f32_e32 v48, v147, v80                               // 000000008390: 0A60A193
	v_mul_f32_e32 v49, v147, v81                               // 000000008394: 0A62A393
	v_mul_f32_e32 v50, v147, v82                               // 000000008398: 0A64A593
	v_mul_f32_e32 v51, v147, v83                               // 00000000839C: 0A66A793
	v_mul_f32_e32 v52, v147, v84                               // 0000000083A0: 0A68A993
	v_mul_f32_e32 v53, v147, v85                               // 0000000083A4: 0A6AAB93
	v_mul_f32_e32 v54, v147, v86                               // 0000000083A8: 0A6CAD93
	v_mul_f32_e32 v55, v147, v87                               // 0000000083AC: 0A6EAF93
	v_mul_f32_e32 v56, v147, v88                               // 0000000083B0: 0A70B193
	v_mul_f32_e32 v57, v147, v89                               // 0000000083B4: 0A72B393
	v_mul_f32_e32 v58, v147, v90                               // 0000000083B8: 0A74B593
	v_mul_f32_e32 v59, v147, v91                               // 0000000083BC: 0A76B793
	v_cvt_pk_fp8_f32 v28, v28, v29                             // 0000000083C0: D2A2001C 00023B1C
	v_cvt_pk_fp8_f32 v28, v30, v31 op_sel:[0,0,1]              // 0000000083C8: D2A2401C 00023F1E
	v_cvt_pk_fp8_f32 v29, v32, v33                             // 0000000083D0: D2A2001D 00024320
	v_cvt_pk_fp8_f32 v29, v34, v35 op_sel:[0,0,1]              // 0000000083D8: D2A2401D 00024722
	v_cvt_pk_fp8_f32 v30, v36, v37                             // 0000000083E0: D2A2001E 00024B24
	v_cvt_pk_fp8_f32 v30, v38, v39 op_sel:[0,0,1]              // 0000000083E8: D2A2401E 00024F26
	v_cvt_pk_fp8_f32 v31, v40, v41                             // 0000000083F0: D2A2001F 00025328
	v_cvt_pk_fp8_f32 v31, v42, v43 op_sel:[0,0,1]              // 0000000083F8: D2A2401F 0002572A
	v_cvt_pk_fp8_f32 v32, v44, v45                             // 000000008400: D2A20020 00025B2C
	v_cvt_pk_fp8_f32 v32, v46, v47 op_sel:[0,0,1]              // 000000008408: D2A24020 00025F2E
	v_cvt_pk_fp8_f32 v33, v48, v49                             // 000000008410: D2A20021 00026330
	v_cvt_pk_fp8_f32 v33, v50, v51 op_sel:[0,0,1]              // 000000008418: D2A24021 00026732
	v_cvt_pk_fp8_f32 v34, v52, v53                             // 000000008420: D2A20022 00026B34
	v_cvt_pk_fp8_f32 v34, v54, v55 op_sel:[0,0,1]              // 000000008428: D2A24022 00026F36
	v_cvt_pk_fp8_f32 v35, v56, v57                             // 000000008430: D2A20023 00027338
	v_cvt_pk_fp8_f32 v35, v58, v59 op_sel:[0,0,1]              // 000000008438: D2A24023 0002773A
	ds_write_b32 v212, v28 offset:4608                         // 000000008440: D81A1200 00001CD4
	ds_write_b32 v212, v29 offset:5632                         // 000000008448: D81A1600 00001DD4
	ds_write_b32 v212, v30 offset:6656                         // 000000008450: D81A1A00 00001ED4
	ds_write_b32 v212, v31 offset:7680                         // 000000008458: D81A1E00 00001FD4
	ds_write_b32 v212, v32 offset:8704                         // 000000008460: D81A2200 000020D4
	ds_write_b32 v212, v33 offset:9728                         // 000000008468: D81A2600 000021D4
	ds_write_b32 v212, v34 offset:10752                        // 000000008470: D81A2A00 000022D4
	ds_write_b32 v212, v35 offset:11776                        // 000000008478: D81A2E00 000023D4
	v_rcp_f32_e32 v132, v146                                   // 000000008480: 7F084592
	v_rcp_f32_e32 v134, v147                                   // 000000008484: 7F0C4593
	v_mov_b32_e32 v133, v132                                   // 000000008488: 7F0A0384
	v_mov_b32_e32 v135, v134                                   // 00000000848C: 7F0E0386
	v_pk_add_f32 v[108:109], v[108:109], v[92:93]              // 000000008490: D3B2406C 1802B96C
	v_pk_add_f32 v[110:111], v[110:111], v[94:95]              // 000000008498: D3B2406E 1802BD6E
	v_pk_add_f32 v[112:113], v[112:113], v[96:97]              // 0000000084A0: D3B24070 1802C170
	v_pk_add_f32 v[114:115], v[114:115], v[98:99]              // 0000000084A8: D3B24072 1802C572
	v_pk_add_f32 v[116:117], v[116:117], v[100:101]            // 0000000084B0: D3B24074 1802C974
	v_pk_add_f32 v[118:119], v[118:119], v[102:103]            // 0000000084B8: D3B24076 1802CD76
	v_pk_add_f32 v[120:121], v[120:121], v[104:105]            // 0000000084C0: D3B24078 1802D178
	v_pk_add_f32 v[122:123], v[122:123], v[106:107]            // 0000000084C8: D3B2407A 1802D57A
	s_waitcnt lgkmcnt(0)                                       // 0000000084D0: BF8CC07F
	s_barrier                                                  // 0000000084D4: BF8A0000
	ds_read_b128 v[28:31], v213 offset:4608                    // 0000000084D8: D9FE1200 1C0000D5
	ds_read_b128 v[32:35], v213 offset:5632                    // 0000000084E0: D9FE1600 200000D5
	ds_read_b128 v[36:39], v213 offset:6656                    // 0000000084E8: D9FE1A00 240000D5
	ds_read_b128 v[40:43], v213 offset:7680                    // 0000000084F0: D9FE1E00 280000D5
	ds_read_b128 v[44:47], v213 offset:8704                    // 0000000084F8: D9FE2200 2C0000D5
	ds_read_b128 v[48:51], v213 offset:9728                    // 000000008500: D9FE2600 300000D5
	ds_read_b128 v[52:55], v213 offset:10752                   // 000000008508: D9FE2A00 340000D5
	ds_read_b128 v[56:59], v213 offset:11776                   // 000000008510: D9FE2E00 380000D5
	s_waitcnt vmcnt(10)                                        // 000000008518: BF8C0F7A
	s_waitcnt lgkmcnt(7)                                       // 00000000851C: BF8CC77F
	v_mfma_f32_16x16x32_fp8_fp8 v[92:95], a[64:65], v[28:29], 0// 000000008520: D3F3005C 0A023940
	v_mfma_f32_16x16x32_fp8_fp8 v[96:99], a[80:81], v[28:29], 0// 000000008528: D3F30060 0A023950
	v_mfma_f32_16x16x32_fp8_fp8 v[92:95], a[66:67], v[30:31], v[92:95]// 000000008530: D3F3005C 0D723D42
	buffer_load_dwordx4 a[96:99], v198, s[16:19], 0 offen      // 000000008538: E05C1000 808460C6
	v_mfma_f32_16x16x32_fp8_fp8 v[96:99], a[82:83], v[30:31], v[96:99]// 000000008540: D3F30060 0D823D52
	s_waitcnt lgkmcnt(6)                                       // 000000008548: BF8CC67F
	v_mfma_f32_16x16x32_fp8_fp8 v[92:95], a[68:69], v[32:33], v[92:95]// 00000000854C: D3F3005C 0D724144
	v_mfma_f32_16x16x32_fp8_fp8 v[96:99], a[84:85], v[32:33], v[96:99]// 000000008554: D3F30060 0D824154
	v_mfma_f32_16x16x32_fp8_fp8 v[92:95], a[70:71], v[34:35], v[92:95]// 00000000855C: D3F3005C 0D724546
	buffer_load_dwordx4 a[100:103], v199, s[16:19], 0 offen    // 000000008564: E05C1000 808464C7
	v_mfma_f32_16x16x32_fp8_fp8 v[96:99], a[86:87], v[34:35], v[96:99]// 00000000856C: D3F30060 0D824556
	s_waitcnt lgkmcnt(5)                                       // 000000008574: BF8CC57F
	v_mfma_f32_16x16x32_fp8_fp8 v[92:95], a[72:73], v[36:37], v[92:95]// 000000008578: D3F3005C 0D724948
	v_mfma_f32_16x16x32_fp8_fp8 v[96:99], a[88:89], v[36:37], v[96:99]// 000000008580: D3F30060 0D824958
	v_mfma_f32_16x16x32_fp8_fp8 v[92:95], a[74:75], v[38:39], v[92:95]// 000000008588: D3F3005C 0D724D4A
	buffer_load_dwordx4 a[104:107], v200, s[16:19], 0 offen    // 000000008590: E05C1000 808468C8
	v_mfma_f32_16x16x32_fp8_fp8 v[96:99], a[90:91], v[38:39], v[96:99]// 000000008598: D3F30060 0D824D5A
	s_waitcnt lgkmcnt(4)                                       // 0000000085A0: BF8CC47F
	v_mfma_f32_16x16x32_fp8_fp8 v[92:95], a[76:77], v[40:41], v[92:95]// 0000000085A4: D3F3005C 0D72514C
	v_mfma_f32_16x16x32_fp8_fp8 v[96:99], a[92:93], v[40:41], v[96:99]// 0000000085AC: D3F30060 0D82515C
	v_mfma_f32_16x16x32_fp8_fp8 v[92:95], a[78:79], v[42:43], v[92:95]// 0000000085B4: D3F3005C 0D72554E
	buffer_load_dwordx4 a[108:111], v201, s[16:19], 0 offen    // 0000000085BC: E05C1000 80846CC9
	v_mfma_f32_16x16x32_fp8_fp8 v[96:99], a[94:95], v[42:43], v[96:99]// 0000000085C4: D3F30060 0D82555E
	s_waitcnt lgkmcnt(3)                                       // 0000000085CC: BF8CC37F
	v_mfma_f32_16x16x32_fp8_fp8 v[100:103], a[64:65], v[44:45], 0// 0000000085D0: D3F30064 0A025940
	v_mfma_f32_16x16x32_fp8_fp8 v[104:107], a[80:81], v[44:45], 0// 0000000085D8: D3F30068 0A025950
	v_mfma_f32_16x16x32_fp8_fp8 v[100:103], a[66:67], v[46:47], v[100:103]// 0000000085E0: D3F30064 0D925D42
	buffer_load_dwordx4 a[112:115], v198, s[16:19], 0 offen offset:1024// 0000000085E8: E05C1400 808470C6
	v_mfma_f32_16x16x32_fp8_fp8 v[104:107], a[82:83], v[46:47], v[104:107]// 0000000085F0: D3F30068 0DA25D52
	s_waitcnt lgkmcnt(2)                                       // 0000000085F8: BF8CC27F
	v_mfma_f32_16x16x32_fp8_fp8 v[100:103], a[68:69], v[48:49], v[100:103]// 0000000085FC: D3F30064 0D926144
	v_mfma_f32_16x16x32_fp8_fp8 v[104:107], a[84:85], v[48:49], v[104:107]// 000000008604: D3F30068 0DA26154
	v_mfma_f32_16x16x32_fp8_fp8 v[100:103], a[70:71], v[50:51], v[100:103]// 00000000860C: D3F30064 0D926546
	buffer_load_dwordx4 a[116:119], v199, s[16:19], 0 offen offset:1024// 000000008614: E05C1400 808474C7
	v_mfma_f32_16x16x32_fp8_fp8 v[104:107], a[86:87], v[50:51], v[104:107]// 00000000861C: D3F30068 0DA26556
	s_waitcnt lgkmcnt(1)                                       // 000000008624: BF8CC17F
	v_mfma_f32_16x16x32_fp8_fp8 v[100:103], a[72:73], v[52:53], v[100:103]// 000000008628: D3F30064 0D926948
	v_mfma_f32_16x16x32_fp8_fp8 v[104:107], a[88:89], v[52:53], v[104:107]// 000000008630: D3F30068 0DA26958
	v_mfma_f32_16x16x32_fp8_fp8 v[100:103], a[74:75], v[54:55], v[100:103]// 000000008638: D3F30064 0D926D4A
	buffer_load_dwordx4 a[120:123], v200, s[16:19], 0 offen offset:1024// 000000008640: E05C1400 808478C8
	v_mfma_f32_16x16x32_fp8_fp8 v[104:107], a[90:91], v[54:55], v[104:107]// 000000008648: D3F30068 0DA26D5A
	s_waitcnt lgkmcnt(0)                                       // 000000008650: BF8CC07F
	v_mfma_f32_16x16x32_fp8_fp8 v[100:103], a[76:77], v[56:57], v[100:103]// 000000008654: D3F30064 0D92714C
	v_mfma_f32_16x16x32_fp8_fp8 v[104:107], a[92:93], v[56:57], v[104:107]// 00000000865C: D3F30068 0DA2715C
	v_mfma_f32_16x16x32_fp8_fp8 v[100:103], a[78:79], v[58:59], v[100:103]// 000000008664: D3F30064 0D92754E
	buffer_load_dwordx4 a[124:127], v201, s[16:19], 0 offen offset:1024// 00000000866C: E05C1400 80847CC9
	v_mfma_f32_16x16x32_fp8_fp8 v[104:107], a[94:95], v[58:59], v[104:107]// 000000008674: D3F30068 0DA2755E
	s_addk_i32 s49, 0x100                                      // 00000000867C: B7310100
	s_cmp_lt_i32 s49, s50                                      // 000000008680: BF043231
	s_cbranch_scc0 label_2915                                  // 000000008684: BF840FB3
	s_waitcnt vmcnt(10)                                        // 000000008688: BF8C0F7A
	v_mfma_f32_16x16x32_fp8_fp8 v[28:31], a[32:33], v[12:13], 0// 00000000868C: D3F3001C 0A021920
	s_add_u32 s12, s84, s64                                    // 000000008694: 800C4054
	s_addc_u32 s13, s85, 0                                     // 000000008698: 820D8055
	v_mfma_f32_16x16x32_fp8_fp8 v[28:31], a[34:35], v[14:15], v[28:31]// 00000000869C: D3F3001C 0C721D22
	s_add_u32 s16, s86, s65                                    // 0000000086A4: 80104156
	s_addc_u32 s17, s87, 0                                     // 0000000086A8: 82118057
	v_mfma_f32_16x16x32_fp8_fp8 v[28:31], a[36:37], v[16:17], v[28:31]// 0000000086AC: D3F3001C 0C722124
	buffer_load_dwordx4 a[0:3], v196, s[12:15], 0 offen        // 0000000086B4: E05C1000 808300C4
	v_mfma_f32_16x16x32_fp8_fp8 v[28:31], a[38:39], v[18:19], v[28:31]// 0000000086BC: D3F3001C 0C722526
	s_add_u32 s28, s88, s66                                    // 0000000086C4: 801C4258
	s_addc_u32 s29, s89, 0                                     // 0000000086C8: 821D8059
	v_mfma_f32_16x16x32_fp8_fp8 v[32:35], a[40:41], v[12:13], 0// 0000000086CC: D3F30020 0A021928
	s_add_u32 s32, s90, s66                                    // 0000000086D4: 8020425A
	s_addc_u32 s33, s91, 0                                     // 0000000086D8: 8221805B
	v_mfma_f32_16x16x32_fp8_fp8 v[32:35], a[42:43], v[14:15], v[32:35]// 0000000086DC: D3F30020 0C821D2A
	s_add_u32 s64, s64, 0x1000                                 // 0000000086E4: 8040FF40 00001000
	s_add_u32 s65, s65, 0x8000                                 // 0000000086EC: 8041FF41 00008000
	v_mfma_f32_16x16x32_fp8_fp8 v[32:35], a[44:45], v[16:17], v[32:35]// 0000000086F4: D3F30020 0C82212C
	buffer_load_dwordx4 a[4:7], v197, s[12:15], 0 offen        // 0000000086FC: E05C1000 808304C5
	v_mfma_f32_16x16x32_fp8_fp8 v[32:35], a[46:47], v[18:19], v[32:35]// 000000008704: D3F30020 0C82252E
	s_add_u32 s66, s66, 0x400                                  // 00000000870C: 8042FF42 00000400
	v_mfma_f32_16x16x32_fp8_fp8 v[36:39], a[48:49], v[12:13], 0// 000000008714: D3F30024 0A021930
	v_mfma_f32_16x16x32_fp8_fp8 v[36:39], a[50:51], v[14:15], v[36:39]// 00000000871C: D3F30024 0C921D32
	v_mfma_f32_16x16x32_fp8_fp8 v[36:39], a[52:53], v[16:17], v[36:39]// 000000008724: D3F30024 0C922134
	buffer_load_dwordx4 a[8:11], v196, s[12:15], 0 offen offset:1024// 00000000872C: E05C1400 808308C4
	v_mfma_f32_16x16x32_fp8_fp8 v[36:39], a[54:55], v[18:19], v[36:39]// 000000008734: D3F30024 0C922536
	v_mfma_f32_16x16x32_fp8_fp8 v[40:43], a[56:57], v[12:13], 0// 00000000873C: D3F30028 0A021938
	v_mfma_f32_16x16x32_fp8_fp8 v[40:43], a[58:59], v[14:15], v[40:43]// 000000008744: D3F30028 0CA21D3A
	v_mfma_f32_16x16x32_fp8_fp8 v[40:43], a[60:61], v[16:17], v[40:43]// 00000000874C: D3F30028 0CA2213C
	buffer_load_dwordx4 a[12:15], v197, s[12:15], 0 offen offset:1024// 000000008754: E05C1400 80830CC5
	v_mfma_f32_16x16x32_fp8_fp8 v[40:43], a[62:63], v[18:19], v[40:43]// 00000000875C: D3F30028 0CA2253E
	v_mfma_f32_16x16x32_fp8_fp8 v[44:47], a[32:33], v[20:21], 0// 000000008764: D3F3002C 0A022920
	v_mfma_f32_16x16x32_fp8_fp8 v[44:47], a[34:35], v[22:23], v[44:47]// 00000000876C: D3F3002C 0CB22D22
	v_mfma_f32_16x16x32_fp8_fp8 v[44:47], a[36:37], v[24:25], v[44:47]// 000000008774: D3F3002C 0CB23124
	buffer_load_dwordx4 a[16:19], v196, s[12:15], 0 offen offset:2048// 00000000877C: E05C1800 808310C4
	v_mfma_f32_16x16x32_fp8_fp8 v[44:47], a[38:39], v[26:27], v[44:47]// 000000008784: D3F3002C 0CB23526
	v_mfma_f32_16x16x32_fp8_fp8 v[48:51], a[40:41], v[20:21], 0// 00000000878C: D3F30030 0A022928
	v_mfma_f32_16x16x32_fp8_fp8 v[48:51], a[42:43], v[22:23], v[48:51]// 000000008794: D3F30030 0CC22D2A
	v_mfma_f32_16x16x32_fp8_fp8 v[48:51], a[44:45], v[24:25], v[48:51]// 00000000879C: D3F30030 0CC2312C
	buffer_load_dwordx4 a[20:23], v197, s[12:15], 0 offen offset:2048// 0000000087A4: E05C1800 808314C5
	v_mfma_f32_16x16x32_fp8_fp8 v[48:51], a[46:47], v[26:27], v[48:51]// 0000000087AC: D3F30030 0CC2352E
	v_mfma_f32_16x16x32_fp8_fp8 v[52:55], a[48:49], v[20:21], 0// 0000000087B4: D3F30034 0A022930
	v_mfma_f32_16x16x32_fp8_fp8 v[52:55], a[50:51], v[22:23], v[52:55]// 0000000087BC: D3F30034 0CD22D32
	v_mfma_f32_16x16x32_fp8_fp8 v[52:55], a[52:53], v[24:25], v[52:55]// 0000000087C4: D3F30034 0CD23134
	buffer_load_dwordx4 a[24:27], v196, s[12:15], 0 offen offset:3072// 0000000087CC: E05C1C00 808318C4
	v_mfma_f32_16x16x32_fp8_fp8 v[52:55], a[54:55], v[26:27], v[52:55]// 0000000087D4: D3F30034 0CD23536
	v_mfma_f32_16x16x32_fp8_fp8 v[56:59], a[56:57], v[20:21], 0// 0000000087DC: D3F30038 0A022938
	v_mfma_f32_16x16x32_fp8_fp8 v[56:59], a[58:59], v[22:23], v[56:59]// 0000000087E4: D3F30038 0CE22D3A
	v_mfma_f32_16x16x32_fp8_fp8 v[56:59], a[60:61], v[24:25], v[56:59]// 0000000087EC: D3F30038 0CE2313C
	buffer_load_dwordx4 a[28:31], v197, s[12:15], 0 offen offset:3072// 0000000087F4: E05C1C00 80831CC5
	v_mfma_f32_16x16x32_fp8_fp8 v[56:59], a[62:63], v[26:27], v[56:59]// 0000000087FC: D3F30038 0CE2353E
	s_waitcnt vmcnt(16)                                        // 000000008804: BF8C4F70
	v_pk_mul_f32 v[28:29], v[124:125], v[28:29]                // 000000008808: D3B1401C 1802397C
	v_pk_mul_f32 v[30:31], v[124:125], v[30:31]                // 000000008810: D3B1401E 18023D7C
	v_mul_f32_dpp v28, v129, v28 row_newbcast:0 row_mask:0xf bank_mask:0xf// 000000008818: 0A3838FA FF015081
	v_mul_f32_dpp v29, v129, v29 row_newbcast:1 row_mask:0xf bank_mask:0xf// 000000008820: 0A3A3AFA FF015181
	v_mul_f32_dpp v30, v129, v30 row_newbcast:2 row_mask:0xf bank_mask:0xf// 000000008828: 0A3C3CFA FF015281
	v_mul_f32_dpp v31, v129, v31 row_newbcast:3 row_mask:0xf bank_mask:0xf// 000000008830: 0A3E3EFA FF015381
	v_pk_mul_f32 v[32:33], v[124:125], v[32:33]                // 000000008838: D3B14020 1802417C
	v_pk_mul_f32 v[34:35], v[124:125], v[34:35]                // 000000008840: D3B14022 1802457C
	v_mul_f32_dpp v32, v129, v32 row_newbcast:4 row_mask:0xf bank_mask:0xf// 000000008848: 0A4040FA FF015481
	v_mul_f32_dpp v33, v129, v33 row_newbcast:5 row_mask:0xf bank_mask:0xf// 000000008850: 0A4242FA FF015581
	v_mul_f32_dpp v34, v129, v34 row_newbcast:6 row_mask:0xf bank_mask:0xf// 000000008858: 0A4444FA FF015681
	v_mul_f32_dpp v35, v129, v35 row_newbcast:7 row_mask:0xf bank_mask:0xf// 000000008860: 0A4646FA FF015781
	v_pk_mul_f32 v[36:37], v[124:125], v[36:37]                // 000000008868: D3B14024 1802497C
	v_pk_mul_f32 v[38:39], v[124:125], v[38:39]                // 000000008870: D3B14026 18024D7C
	v_mul_f32_dpp v36, v129, v36 row_newbcast:8 row_mask:0xf bank_mask:0xf// 000000008878: 0A4848FA FF015881
	v_mul_f32_dpp v37, v129, v37 row_newbcast:9 row_mask:0xf bank_mask:0xf// 000000008880: 0A4A4AFA FF015981
	v_mul_f32_dpp v38, v129, v38 row_newbcast:10 row_mask:0xf bank_mask:0xf// 000000008888: 0A4C4CFA FF015A81
	v_mul_f32_dpp v39, v129, v39 row_newbcast:11 row_mask:0xf bank_mask:0xf// 000000008890: 0A4E4EFA FF015B81
	v_pk_mul_f32 v[40:41], v[124:125], v[40:41]                // 000000008898: D3B14028 1802517C
	v_pk_mul_f32 v[42:43], v[124:125], v[42:43]                // 0000000088A0: D3B1402A 1802557C
	v_mul_f32_dpp v40, v129, v40 row_newbcast:12 row_mask:0xf bank_mask:0xf// 0000000088A8: 0A5050FA FF015C81
	v_mul_f32_dpp v41, v129, v41 row_newbcast:13 row_mask:0xf bank_mask:0xf// 0000000088B0: 0A5252FA FF015D81
	v_mul_f32_dpp v42, v129, v42 row_newbcast:14 row_mask:0xf bank_mask:0xf// 0000000088B8: 0A5454FA FF015E81
	v_mul_f32_dpp v43, v129, v43 row_newbcast:15 row_mask:0xf bank_mask:0xf// 0000000088C0: 0A5656FA FF015F81
	v_pk_mul_f32 v[44:45], v[126:127], v[44:45]                // 0000000088C8: D3B1402C 1802597E
	v_pk_mul_f32 v[46:47], v[126:127], v[46:47]                // 0000000088D0: D3B1402E 18025D7E
	v_mul_f32_dpp v44, v129, v44 row_newbcast:0 row_mask:0xf bank_mask:0xf// 0000000088D8: 0A5858FA FF015081
	v_mul_f32_dpp v45, v129, v45 row_newbcast:1 row_mask:0xf bank_mask:0xf// 0000000088E0: 0A5A5AFA FF015181
	v_mul_f32_dpp v46, v129, v46 row_newbcast:2 row_mask:0xf bank_mask:0xf// 0000000088E8: 0A5C5CFA FF015281
	v_mul_f32_dpp v47, v129, v47 row_newbcast:3 row_mask:0xf bank_mask:0xf// 0000000088F0: 0A5E5EFA FF015381
	v_pk_mul_f32 v[48:49], v[126:127], v[48:49]                // 0000000088F8: D3B14030 1802617E
	v_pk_mul_f32 v[50:51], v[126:127], v[50:51]                // 000000008900: D3B14032 1802657E
	v_mul_f32_dpp v48, v129, v48 row_newbcast:4 row_mask:0xf bank_mask:0xf// 000000008908: 0A6060FA FF015481
	v_mul_f32_dpp v49, v129, v49 row_newbcast:5 row_mask:0xf bank_mask:0xf// 000000008910: 0A6262FA FF015581
	v_mul_f32_dpp v50, v129, v50 row_newbcast:6 row_mask:0xf bank_mask:0xf// 000000008918: 0A6464FA FF015681
	v_mul_f32_dpp v51, v129, v51 row_newbcast:7 row_mask:0xf bank_mask:0xf// 000000008920: 0A6666FA FF015781
	v_pk_mul_f32 v[52:53], v[126:127], v[52:53]                // 000000008928: D3B14034 1802697E
	v_pk_mul_f32 v[54:55], v[126:127], v[54:55]                // 000000008930: D3B14036 18026D7E
	v_mul_f32_dpp v52, v129, v52 row_newbcast:8 row_mask:0xf bank_mask:0xf// 000000008938: 0A6868FA FF015881
	v_mul_f32_dpp v53, v129, v53 row_newbcast:9 row_mask:0xf bank_mask:0xf// 000000008940: 0A6A6AFA FF015981
	v_mul_f32_dpp v54, v129, v54 row_newbcast:10 row_mask:0xf bank_mask:0xf// 000000008948: 0A6C6CFA FF015A81
	v_mul_f32_dpp v55, v129, v55 row_newbcast:11 row_mask:0xf bank_mask:0xf// 000000008950: 0A6E6EFA FF015B81
	v_pk_mul_f32 v[56:57], v[126:127], v[56:57]                // 000000008958: D3B14038 1802717E
	v_pk_mul_f32 v[58:59], v[126:127], v[58:59]                // 000000008960: D3B1403A 1802757E
	v_mul_f32_dpp v56, v129, v56 row_newbcast:12 row_mask:0xf bank_mask:0xf// 000000008968: 0A7070FA FF015C81
	v_mul_f32_dpp v57, v129, v57 row_newbcast:13 row_mask:0xf bank_mask:0xf// 000000008970: 0A7272FA FF015D81
	v_mul_f32_dpp v58, v129, v58 row_newbcast:14 row_mask:0xf bank_mask:0xf// 000000008978: 0A7474FA FF015E81
	v_mul_f32_dpp v59, v129, v59 row_newbcast:15 row_mask:0xf bank_mask:0xf// 000000008980: 0A7676FA FF015F81
	v_mov_b32_e32 v146, v28                                    // 000000008988: 7F24031C
	v_max3_f32 v146, v28, v29, v146                            // 00000000898C: D1D30092 064A3B1C
	v_max3_f32 v146, v30, v31, v146                            // 000000008994: D1D30092 064A3F1E
	v_max3_f32 v146, v32, v33, v146                            // 00000000899C: D1D30092 064A4320
	v_max3_f32 v146, v34, v35, v146                            // 0000000089A4: D1D30092 064A4722
	v_max3_f32 v146, v36, v37, v146                            // 0000000089AC: D1D30092 064A4B24
	v_max3_f32 v146, v38, v39, v146                            // 0000000089B4: D1D30092 064A4F26
	v_max3_f32 v146, v40, v41, v146                            // 0000000089BC: D1D30092 064A5328
	v_max3_f32 v146, v42, v43, v146                            // 0000000089C4: D1D30092 064A572A
	v_mov_b32_e32 v147, v44                                    // 0000000089CC: 7F26032C
	v_max3_f32 v147, v44, v45, v147                            // 0000000089D0: D1D30093 064E5B2C
	v_max3_f32 v147, v46, v47, v147                            // 0000000089D8: D1D30093 064E5F2E
	v_max3_f32 v147, v48, v49, v147                            // 0000000089E0: D1D30093 064E6330
	v_max3_f32 v147, v50, v51, v147                            // 0000000089E8: D1D30093 064E6732
	v_max3_f32 v147, v52, v53, v147                            // 0000000089F0: D1D30093 064E6B34
	v_max3_f32 v147, v54, v55, v147                            // 0000000089F8: D1D30093 064E6F36
	v_max3_f32 v147, v56, v57, v147                            // 000000008A00: D1D30093 064E7338
	v_max3_f32 v147, v58, v59, v147                            // 000000008A08: D1D30093 064E773A
	ds_write_b64 v210, v[146:147]                              // 000000008A10: D89A0000 000092D2
	v_pk_mul_f32 v[108:109], v[140:141], v[108:109]            // 000000008A18: D3B1406C 1802D98C
	v_pk_mul_f32 v[110:111], v[140:141], v[110:111]            // 000000008A20: D3B1406E 1802DD8C
	v_pk_mul_f32 v[112:113], v[140:141], v[112:113]            // 000000008A28: D3B14070 1802E18C
	v_pk_mul_f32 v[114:115], v[140:141], v[114:115]            // 000000008A30: D3B14072 1802E58C
	v_pk_mul_f32 v[116:117], v[142:143], v[116:117]            // 000000008A38: D3B14074 1802E98E
	v_pk_mul_f32 v[118:119], v[142:143], v[118:119]            // 000000008A40: D3B14076 1802ED8E
	v_pk_mul_f32 v[120:121], v[142:143], v[120:121]            // 000000008A48: D3B14078 1802F18E
	v_pk_mul_f32 v[122:123], v[142:143], v[122:123]            // 000000008A50: D3B1407A 1802F58E
	s_waitcnt lgkmcnt(0)                                       // 000000008A58: BF8CC07F
	s_barrier                                                  // 000000008A5C: BF8A0000
	v_pk_mul_f32 v[92:93], v[132:133], v[92:93]                // 000000008A60: D3B1405C 1802B984
	v_pk_mul_f32 v[94:95], v[132:133], v[94:95]                // 000000008A68: D3B1405E 1802BD84
	v_pk_mul_f32 v[96:97], v[132:133], v[96:97]                // 000000008A70: D3B14060 1802C184
	v_pk_mul_f32 v[98:99], v[132:133], v[98:99]                // 000000008A78: D3B14062 1802C584
	v_pk_mul_f32 v[100:101], v[134:135], v[100:101]            // 000000008A80: D3B14064 1802C986
	v_pk_mul_f32 v[102:103], v[134:135], v[102:103]            // 000000008A88: D3B14066 1802CD86
	v_pk_mul_f32 v[104:105], v[134:135], v[104:105]            // 000000008A90: D3B14068 1802D186
	v_pk_mul_f32 v[106:107], v[134:135], v[106:107]            // 000000008A98: D3B1406A 1802D586
	ds_read_b64 v[148:149], v211                               // 000000008AA0: D8EC0000 940000D3
	ds_read_b64 v[150:151], v211 offset:128                    // 000000008AA8: D8EC0080 960000D3
	ds_read_b64 v[152:153], v211 offset:256                    // 000000008AB0: D8EC0100 980000D3
	ds_read_b64 v[154:155], v211 offset:384                    // 000000008AB8: D8EC0180 9A0000D3
	ds_read_b64 v[156:157], v211 offset:512                    // 000000008AC0: D8EC0200 9C0000D3
	ds_read_b64 v[158:159], v211 offset:640                    // 000000008AC8: D8EC0280 9E0000D3
	ds_read_b64 v[160:161], v211 offset:768                    // 000000008AD0: D8EC0300 A00000D3
	ds_read_b64 v[162:163], v211 offset:896                    // 000000008AD8: D8EC0380 A20000D3
	ds_read_b64 v[164:165], v211 offset:1024                   // 000000008AE0: D8EC0400 A40000D3
	ds_read_b64 v[166:167], v211 offset:1152                   // 000000008AE8: D8EC0480 A60000D3
	ds_read_b64 v[168:169], v211 offset:1280                   // 000000008AF0: D8EC0500 A80000D3
	ds_read_b64 v[170:171], v211 offset:1408                   // 000000008AF8: D8EC0580 AA0000D3
	ds_read_b64 v[172:173], v211 offset:1536                   // 000000008B00: D8EC0600 AC0000D3
	ds_read_b64 v[174:175], v211 offset:1664                   // 000000008B08: D8EC0680 AE0000D3
	ds_read_b64 v[176:177], v211 offset:1792                   // 000000008B10: D8EC0700 B00000D3
	ds_read_b64 v[178:179], v211 offset:1920                   // 000000008B18: D8EC0780 B20000D3
	s_waitcnt lgkmcnt(0)                                       // 000000008B20: BF8CC07F
	v_max3_f32 v146, v148, v150, v146                          // 000000008B24: D1D30092 064B2D94
	v_max3_f32 v147, v149, v151, v147                          // 000000008B2C: D1D30093 064F2F95
	v_max3_f32 v146, v152, v154, v146                          // 000000008B34: D1D30092 064B3598
	v_max3_f32 v147, v153, v155, v147                          // 000000008B3C: D1D30093 064F3799
	v_max3_f32 v146, v156, v158, v146                          // 000000008B44: D1D30092 064B3D9C
	v_max3_f32 v147, v157, v159, v147                          // 000000008B4C: D1D30093 064F3F9D
	v_max3_f32 v146, v160, v162, v146                          // 000000008B54: D1D30092 064B45A0
	v_max3_f32 v147, v161, v163, v147                          // 000000008B5C: D1D30093 064F47A1
	v_max3_f32 v146, v164, v166, v146                          // 000000008B64: D1D30092 064B4DA4
	v_max3_f32 v147, v165, v167, v147                          // 000000008B6C: D1D30093 064F4FA5
	v_max3_f32 v146, v168, v170, v146                          // 000000008B74: D1D30092 064B55A8
	v_max3_f32 v147, v169, v171, v147                          // 000000008B7C: D1D30093 064F57A9
	v_max3_f32 v146, v172, v174, v146                          // 000000008B84: D1D30092 064B5DAC
	v_max3_f32 v147, v173, v175, v147                          // 000000008B8C: D1D30093 064F5FAD
	v_max3_f32 v146, v176, v178, v146                          // 000000008B94: D1D30092 064B65B0
	v_max3_f32 v147, v177, v179, v147                          // 000000008B9C: D1D30093 064F67B1
	v_max_f32_e32 v138, v146, v136                             // 000000008BA4: 17151192
	v_mul_f32_e64 v180, -s51, v138                             // 000000008BA8: D10500B4 20031433
	v_mov_b32_e32 v181, v180                                   // 000000008BB0: 7F6A03B4
	v_pk_fma_f32 v[28:29], v[28:29], s[68:69], v[180:181]      // 000000008BB4: D3B0401C 1ED0891C
	v_pk_fma_f32 v[30:31], v[30:31], s[68:69], v[180:181]      // 000000008BBC: D3B0401E 1ED0891E
	v_exp_f32_e32 v28, v28                                     // 000000008BC4: 7E38411C
	v_exp_f32_e32 v29, v29                                     // 000000008BC8: 7E3A411D
	v_exp_f32_e32 v30, v30                                     // 000000008BCC: 7E3C411E
	v_exp_f32_e32 v31, v31                                     // 000000008BD0: 7E3E411F
	v_pk_fma_f32 v[32:33], v[32:33], s[68:69], v[180:181]      // 000000008BD4: D3B04020 1ED08920
	v_pk_fma_f32 v[34:35], v[34:35], s[68:69], v[180:181]      // 000000008BDC: D3B04022 1ED08922
	v_exp_f32_e32 v32, v32                                     // 000000008BE4: 7E404120
	v_exp_f32_e32 v33, v33                                     // 000000008BE8: 7E424121
	v_exp_f32_e32 v34, v34                                     // 000000008BEC: 7E444122
	v_exp_f32_e32 v35, v35                                     // 000000008BF0: 7E464123
	v_pk_fma_f32 v[36:37], v[36:37], s[68:69], v[180:181]      // 000000008BF4: D3B04024 1ED08924
	v_pk_fma_f32 v[38:39], v[38:39], s[68:69], v[180:181]      // 000000008BFC: D3B04026 1ED08926
	v_exp_f32_e32 v36, v36                                     // 000000008C04: 7E484124
	v_exp_f32_e32 v37, v37                                     // 000000008C08: 7E4A4125
	v_exp_f32_e32 v38, v38                                     // 000000008C0C: 7E4C4126
	v_exp_f32_e32 v39, v39                                     // 000000008C10: 7E4E4127
	v_pk_fma_f32 v[40:41], v[40:41], s[68:69], v[180:181]      // 000000008C14: D3B04028 1ED08928
	v_pk_fma_f32 v[42:43], v[42:43], s[68:69], v[180:181]      // 000000008C1C: D3B0402A 1ED0892A
	v_exp_f32_e32 v40, v40                                     // 000000008C24: 7E504128
	v_exp_f32_e32 v41, v41                                     // 000000008C28: 7E524129
	v_exp_f32_e32 v42, v42                                     // 000000008C2C: 7E54412A
	v_exp_f32_e32 v43, v43                                     // 000000008C30: 7E56412B
	v_max_f32_e32 v139, v147, v137                             // 000000008C34: 17171393
	v_mul_f32_e64 v180, -s51, v139                             // 000000008C38: D10500B4 20031633
	v_mov_b32_e32 v181, v180                                   // 000000008C40: 7F6A03B4
	v_pk_fma_f32 v[44:45], v[44:45], s[68:69], v[180:181]      // 000000008C44: D3B0402C 1ED0892C
	v_pk_fma_f32 v[46:47], v[46:47], s[68:69], v[180:181]      // 000000008C4C: D3B0402E 1ED0892E
	v_exp_f32_e32 v44, v44                                     // 000000008C54: 7E58412C
	v_exp_f32_e32 v45, v45                                     // 000000008C58: 7E5A412D
	v_exp_f32_e32 v46, v46                                     // 000000008C5C: 7E5C412E
	v_exp_f32_e32 v47, v47                                     // 000000008C60: 7E5E412F
	v_pk_fma_f32 v[48:49], v[48:49], s[68:69], v[180:181]      // 000000008C64: D3B04030 1ED08930
	v_pk_fma_f32 v[50:51], v[50:51], s[68:69], v[180:181]      // 000000008C6C: D3B04032 1ED08932
	v_exp_f32_e32 v48, v48                                     // 000000008C74: 7E604130
	v_exp_f32_e32 v49, v49                                     // 000000008C78: 7E624131
	v_exp_f32_e32 v50, v50                                     // 000000008C7C: 7E644132
	v_exp_f32_e32 v51, v51                                     // 000000008C80: 7E664133
	v_pk_fma_f32 v[52:53], v[52:53], s[68:69], v[180:181]      // 000000008C84: D3B04034 1ED08934
	v_pk_fma_f32 v[54:55], v[54:55], s[68:69], v[180:181]      // 000000008C8C: D3B04036 1ED08936
	v_exp_f32_e32 v52, v52                                     // 000000008C94: 7E684134
	v_exp_f32_e32 v53, v53                                     // 000000008C98: 7E6A4135
	v_exp_f32_e32 v54, v54                                     // 000000008C9C: 7E6C4136
	v_exp_f32_e32 v55, v55                                     // 000000008CA0: 7E6E4137
	v_pk_fma_f32 v[56:57], v[56:57], s[68:69], v[180:181]      // 000000008CA4: D3B04038 1ED08938
	v_pk_fma_f32 v[58:59], v[58:59], s[68:69], v[180:181]      // 000000008CAC: D3B0403A 1ED0893A
	v_exp_f32_e32 v56, v56                                     // 000000008CB4: 7E704138
	v_exp_f32_e32 v57, v57                                     // 000000008CB8: 7E724139
	v_exp_f32_e32 v58, v58                                     // 000000008CBC: 7E74413A
	v_exp_f32_e32 v59, v59                                     // 000000008CC0: 7E76413B
	v_mul_f32_dpp v60, v131, v28 row_newbcast:0 row_mask:0xf bank_mask:0xf// 000000008CC4: 0A7838FA FF015083
	v_mul_f32_dpp v61, v131, v29 row_newbcast:1 row_mask:0xf bank_mask:0xf// 000000008CCC: 0A7A3AFA FF015183
	v_mul_f32_dpp v62, v131, v30 row_newbcast:2 row_mask:0xf bank_mask:0xf// 000000008CD4: 0A7C3CFA FF015283
	v_mul_f32_dpp v63, v131, v31 row_newbcast:3 row_mask:0xf bank_mask:0xf// 000000008CDC: 0A7E3EFA FF015383
	v_mul_f32_dpp v64, v131, v32 row_newbcast:4 row_mask:0xf bank_mask:0xf// 000000008CE4: 0A8040FA FF015483
	v_mul_f32_dpp v65, v131, v33 row_newbcast:5 row_mask:0xf bank_mask:0xf// 000000008CEC: 0A8242FA FF015583
	v_mul_f32_dpp v66, v131, v34 row_newbcast:6 row_mask:0xf bank_mask:0xf// 000000008CF4: 0A8444FA FF015683
	v_mul_f32_dpp v67, v131, v35 row_newbcast:7 row_mask:0xf bank_mask:0xf// 000000008CFC: 0A8646FA FF015783
	v_mul_f32_dpp v68, v131, v36 row_newbcast:8 row_mask:0xf bank_mask:0xf// 000000008D04: 0A8848FA FF015883
	v_mul_f32_dpp v69, v131, v37 row_newbcast:9 row_mask:0xf bank_mask:0xf// 000000008D0C: 0A8A4AFA FF015983
	v_mul_f32_dpp v70, v131, v38 row_newbcast:10 row_mask:0xf bank_mask:0xf// 000000008D14: 0A8C4CFA FF015A83
	v_mul_f32_dpp v71, v131, v39 row_newbcast:11 row_mask:0xf bank_mask:0xf// 000000008D1C: 0A8E4EFA FF015B83
	v_mul_f32_dpp v72, v131, v40 row_newbcast:12 row_mask:0xf bank_mask:0xf// 000000008D24: 0A9050FA FF015C83
	v_mul_f32_dpp v73, v131, v41 row_newbcast:13 row_mask:0xf bank_mask:0xf// 000000008D2C: 0A9252FA FF015D83
	v_mul_f32_dpp v74, v131, v42 row_newbcast:14 row_mask:0xf bank_mask:0xf// 000000008D34: 0A9454FA FF015E83
	v_mul_f32_dpp v75, v131, v43 row_newbcast:15 row_mask:0xf bank_mask:0xf// 000000008D3C: 0A9656FA FF015F83
	v_mul_f32_dpp v76, v131, v44 row_newbcast:0 row_mask:0xf bank_mask:0xf// 000000008D44: 0A9858FA FF015083
	v_mul_f32_dpp v77, v131, v45 row_newbcast:1 row_mask:0xf bank_mask:0xf// 000000008D4C: 0A9A5AFA FF015183
	v_mul_f32_dpp v78, v131, v46 row_newbcast:2 row_mask:0xf bank_mask:0xf// 000000008D54: 0A9C5CFA FF015283
	v_mul_f32_dpp v79, v131, v47 row_newbcast:3 row_mask:0xf bank_mask:0xf// 000000008D5C: 0A9E5EFA FF015383
	v_mul_f32_dpp v80, v131, v48 row_newbcast:4 row_mask:0xf bank_mask:0xf// 000000008D64: 0AA060FA FF015483
	v_mul_f32_dpp v81, v131, v49 row_newbcast:5 row_mask:0xf bank_mask:0xf// 000000008D6C: 0AA262FA FF015583
	v_mul_f32_dpp v82, v131, v50 row_newbcast:6 row_mask:0xf bank_mask:0xf// 000000008D74: 0AA464FA FF015683
	v_mul_f32_dpp v83, v131, v51 row_newbcast:7 row_mask:0xf bank_mask:0xf// 000000008D7C: 0AA666FA FF015783
	v_mul_f32_dpp v84, v131, v52 row_newbcast:8 row_mask:0xf bank_mask:0xf// 000000008D84: 0AA868FA FF015883
	v_mul_f32_dpp v85, v131, v53 row_newbcast:9 row_mask:0xf bank_mask:0xf// 000000008D8C: 0AAA6AFA FF015983
	v_mul_f32_dpp v86, v131, v54 row_newbcast:10 row_mask:0xf bank_mask:0xf// 000000008D94: 0AAC6CFA FF015A83
	v_mul_f32_dpp v87, v131, v55 row_newbcast:11 row_mask:0xf bank_mask:0xf// 000000008D9C: 0AAE6EFA FF015B83
	v_mul_f32_dpp v88, v131, v56 row_newbcast:12 row_mask:0xf bank_mask:0xf// 000000008DA4: 0AB070FA FF015C83
	v_mul_f32_dpp v89, v131, v57 row_newbcast:13 row_mask:0xf bank_mask:0xf// 000000008DAC: 0AB272FA FF015D83
	v_mul_f32_dpp v90, v131, v58 row_newbcast:14 row_mask:0xf bank_mask:0xf// 000000008DB4: 0AB474FA FF015E83
	v_mul_f32_dpp v91, v131, v59 row_newbcast:15 row_mask:0xf bank_mask:0xf// 000000008DBC: 0AB676FA FF015F83
	v_mov_b32_e32 v146, 0x358637bd                             // 000000008DC4: 7F2402FF 358637BD
	v_max3_f32 v146, |v60|, |v61|, v146                        // 000000008DCC: D1D30392 064A7B3C
	v_max3_f32 v146, |v62|, |v63|, v146                        // 000000008DD4: D1D30392 064A7F3E
	v_max3_f32 v146, |v64|, |v65|, v146                        // 000000008DDC: D1D30392 064A8340
	v_max3_f32 v146, |v66|, |v67|, v146                        // 000000008DE4: D1D30392 064A8742
	v_max3_f32 v146, |v68|, |v69|, v146                        // 000000008DEC: D1D30392 064A8B44
	v_max3_f32 v146, |v70|, |v71|, v146                        // 000000008DF4: D1D30392 064A8F46
	v_max3_f32 v146, |v72|, |v73|, v146                        // 000000008DFC: D1D30392 064A9348
	v_max3_f32 v146, |v74|, |v75|, v146                        // 000000008E04: D1D30392 064A974A
	v_mov_b32_e32 v147, 0x358637bd                             // 000000008E0C: 7F2602FF 358637BD
	v_max3_f32 v147, |v76|, |v77|, v147                        // 000000008E14: D1D30393 064E9B4C
	v_max3_f32 v147, |v78|, |v79|, v147                        // 000000008E1C: D1D30393 064E9F4E
	v_max3_f32 v147, |v80|, |v81|, v147                        // 000000008E24: D1D30393 064EA350
	v_max3_f32 v147, |v82|, |v83|, v147                        // 000000008E2C: D1D30393 064EA752
	v_max3_f32 v147, |v84|, |v85|, v147                        // 000000008E34: D1D30393 064EAB54
	v_max3_f32 v147, |v86|, |v87|, v147                        // 000000008E3C: D1D30393 064EAF56
	v_max3_f32 v147, |v88|, |v89|, v147                        // 000000008E44: D1D30393 064EB358
	v_max3_f32 v147, |v90|, |v91|, v147                        // 000000008E4C: D1D30393 064EB75A
	ds_write_b64 v210, v[146:147] offset:2304                  // 000000008E54: D89A0900 000092D2
	buffer_load_dword v128, v202, s[28:31], 0 offen            // 000000008E5C: E0501000 800780CA
	v_sub_f32_e32 v140, v136, v138                             // 000000008E64: 05191588
	v_cmp_eq_u32_e64 s[92:93], v191, v136                      // 000000008E68: D0CA005C 000311BF
	s_nop 0                                                    // 000000008E70: BF800000
	v_cndmask_b32_e64 v140, v140, 0, s[92:93]                  // 000000008E74: D100008C 0171018C
	v_mov_b32_e32 v136, v138                                   // 000000008E7C: 7F10038A
	v_mul_f32_e32 v140, s51, v140                              // 000000008E80: 0B191833
	v_exp_f32_e32 v140, v140                                   // 000000008E84: 7F18418C
	v_sub_f32_e32 v142, v137, v139                             // 000000008E88: 051D1789
	v_cmp_eq_u32_e64 s[92:93], v191, v137                      // 000000008E8C: D0CA005C 000313BF
	s_nop 0                                                    // 000000008E94: BF800000
	v_cndmask_b32_e64 v142, v142, 0, s[92:93]                  // 000000008E98: D100008E 0171018E
	v_mov_b32_e32 v137, v139                                   // 000000008EA0: 7F12038B
	v_mul_f32_e32 v142, s51, v142                              // 000000008EA4: 0B1D1C33
	v_exp_f32_e32 v142, v142                                   // 000000008EA8: 7F1C418E
	v_mov_b32_e32 v141, v140                                   // 000000008EAC: 7F1A038C
	v_mov_b32_e32 v143, v142                                   // 000000008EB0: 7F1E038E
	buffer_load_dword v130, v203, s[32:35], 0 offen            // 000000008EB4: E0501000 800882CB
	s_waitcnt lgkmcnt(0)                                       // 000000008EBC: BF8CC07F
	s_barrier                                                  // 000000008EC0: BF8A0000
	v_mul_f32_e32 v144, v140, v144                             // 000000008EC4: 0B21218C
	v_add_f32_e32 v144, v28, v144                              // 000000008EC8: 0321211C
	v_add_f32_e32 v144, v29, v144                              // 000000008ECC: 0321211D
	v_add_f32_e32 v144, v30, v144                              // 000000008ED0: 0321211E
	v_add_f32_e32 v144, v31, v144                              // 000000008ED4: 0321211F
	v_add_f32_e32 v144, v32, v144                              // 000000008ED8: 03212120
	v_add_f32_e32 v144, v33, v144                              // 000000008EDC: 03212121
	v_add_f32_e32 v144, v34, v144                              // 000000008EE0: 03212122
	v_add_f32_e32 v144, v35, v144                              // 000000008EE4: 03212123
	v_add_f32_e32 v144, v36, v144                              // 000000008EE8: 03212124
	v_add_f32_e32 v144, v37, v144                              // 000000008EEC: 03212125
	v_add_f32_e32 v144, v38, v144                              // 000000008EF0: 03212126
	v_add_f32_e32 v144, v39, v144                              // 000000008EF4: 03212127
	v_add_f32_e32 v144, v40, v144                              // 000000008EF8: 03212128
	v_add_f32_e32 v144, v41, v144                              // 000000008EFC: 03212129
	v_add_f32_e32 v144, v42, v144                              // 000000008F00: 0321212A
	v_add_f32_e32 v144, v43, v144                              // 000000008F04: 0321212B
	v_mul_f32_e32 v145, v142, v145                             // 000000008F08: 0B23238E
	v_add_f32_e32 v145, v44, v145                              // 000000008F0C: 0323232C
	v_add_f32_e32 v145, v45, v145                              // 000000008F10: 0323232D
	v_add_f32_e32 v145, v46, v145                              // 000000008F14: 0323232E
	v_add_f32_e32 v145, v47, v145                              // 000000008F18: 0323232F
	v_add_f32_e32 v145, v48, v145                              // 000000008F1C: 03232330
	v_add_f32_e32 v145, v49, v145                              // 000000008F20: 03232331
	v_add_f32_e32 v145, v50, v145                              // 000000008F24: 03232332
	v_add_f32_e32 v145, v51, v145                              // 000000008F28: 03232333
	v_add_f32_e32 v145, v52, v145                              // 000000008F2C: 03232334
	v_add_f32_e32 v145, v53, v145                              // 000000008F30: 03232335
	v_add_f32_e32 v145, v54, v145                              // 000000008F34: 03232336
	v_add_f32_e32 v145, v55, v145                              // 000000008F38: 03232337
	v_add_f32_e32 v145, v56, v145                              // 000000008F3C: 03232338
	v_add_f32_e32 v145, v57, v145                              // 000000008F40: 03232339
	v_add_f32_e32 v145, v58, v145                              // 000000008F44: 0323233A
	v_add_f32_e32 v145, v59, v145                              // 000000008F48: 0323233B
	ds_read_b64 v[148:149], v211 offset:2304                   // 000000008F4C: D8EC0900 940000D3
	ds_read_b64 v[150:151], v211 offset:2432                   // 000000008F54: D8EC0980 960000D3
	ds_read_b64 v[152:153], v211 offset:2560                   // 000000008F5C: D8EC0A00 980000D3
	ds_read_b64 v[154:155], v211 offset:2688                   // 000000008F64: D8EC0A80 9A0000D3
	ds_read_b64 v[156:157], v211 offset:2816                   // 000000008F6C: D8EC0B00 9C0000D3
	ds_read_b64 v[158:159], v211 offset:2944                   // 000000008F74: D8EC0B80 9E0000D3
	ds_read_b64 v[160:161], v211 offset:3072                   // 000000008F7C: D8EC0C00 A00000D3
	ds_read_b64 v[162:163], v211 offset:3200                   // 000000008F84: D8EC0C80 A20000D3
	ds_read_b64 v[164:165], v211 offset:3328                   // 000000008F8C: D8EC0D00 A40000D3
	ds_read_b64 v[166:167], v211 offset:3456                   // 000000008F94: D8EC0D80 A60000D3
	ds_read_b64 v[168:169], v211 offset:3584                   // 000000008F9C: D8EC0E00 A80000D3
	ds_read_b64 v[170:171], v211 offset:3712                   // 000000008FA4: D8EC0E80 AA0000D3
	ds_read_b64 v[172:173], v211 offset:3840                   // 000000008FAC: D8EC0F00 AC0000D3
	ds_read_b64 v[174:175], v211 offset:3968                   // 000000008FB4: D8EC0F80 AE0000D3
	ds_read_b64 v[176:177], v211 offset:4096                   // 000000008FBC: D8EC1000 B00000D3
	ds_read_b64 v[178:179], v211 offset:4224                   // 000000008FC4: D8EC1080 B20000D3
	s_waitcnt lgkmcnt(0)                                       // 000000008FCC: BF8CC07F
	v_max3_f32 v146, v148, v150, v146                          // 000000008FD0: D1D30092 064B2D94
	v_max3_f32 v147, v149, v151, v147                          // 000000008FD8: D1D30093 064F2F95
	v_max3_f32 v146, v152, v154, v146                          // 000000008FE0: D1D30092 064B3598
	v_max3_f32 v147, v153, v155, v147                          // 000000008FE8: D1D30093 064F3799
	v_max3_f32 v146, v156, v158, v146                          // 000000008FF0: D1D30092 064B3D9C
	v_max3_f32 v147, v157, v159, v147                          // 000000008FF8: D1D30093 064F3F9D
	v_max3_f32 v146, v160, v162, v146                          // 000000009000: D1D30092 064B45A0
	v_max3_f32 v147, v161, v163, v147                          // 000000009008: D1D30093 064F47A1
	v_max3_f32 v146, v164, v166, v146                          // 000000009010: D1D30092 064B4DA4
	v_max3_f32 v147, v165, v167, v147                          // 000000009018: D1D30093 064F4FA5
	v_max3_f32 v146, v168, v170, v146                          // 000000009020: D1D30092 064B55A8
	v_max3_f32 v147, v169, v171, v147                          // 000000009028: D1D30093 064F57A9
	v_max3_f32 v146, v172, v174, v146                          // 000000009030: D1D30092 064B5DAC
	v_max3_f32 v147, v173, v175, v147                          // 000000009038: D1D30093 064F5FAD
	v_max3_f32 v146, v176, v178, v146                          // 000000009040: D1D30092 064B65B0
	v_max3_f32 v147, v177, v179, v147                          // 000000009048: D1D30093 064F67B1
	v_rcp_f32_e32 v146, v146                                   // 000000009050: 7F244592
	v_rcp_f32_e32 v147, v147                                   // 000000009054: 7F264593
	v_mul_f32_e32 v146, 0x43700000, v146                       // 000000009058: 0B2524FF 43700000
	v_mul_f32_e32 v147, 0x43700000, v147                       // 000000009060: 0B2726FF 43700000
	v_mul_f32_e32 v28, v146, v60                               // 000000009068: 0A387992
	v_mul_f32_e32 v29, v146, v61                               // 00000000906C: 0A3A7B92
	v_mul_f32_e32 v30, v146, v62                               // 000000009070: 0A3C7D92
	v_mul_f32_e32 v31, v146, v63                               // 000000009074: 0A3E7F92
	v_mul_f32_e32 v32, v146, v64                               // 000000009078: 0A408192
	v_mul_f32_e32 v33, v146, v65                               // 00000000907C: 0A428392
	v_mul_f32_e32 v34, v146, v66                               // 000000009080: 0A448592
	v_mul_f32_e32 v35, v146, v67                               // 000000009084: 0A468792
	v_mul_f32_e32 v36, v146, v68                               // 000000009088: 0A488992
	v_mul_f32_e32 v37, v146, v69                               // 00000000908C: 0A4A8B92
	v_mul_f32_e32 v38, v146, v70                               // 000000009090: 0A4C8D92
	v_mul_f32_e32 v39, v146, v71                               // 000000009094: 0A4E8F92
	v_mul_f32_e32 v40, v146, v72                               // 000000009098: 0A509192
	v_mul_f32_e32 v41, v146, v73                               // 00000000909C: 0A529392
	v_mul_f32_e32 v42, v146, v74                               // 0000000090A0: 0A549592
	v_mul_f32_e32 v43, v146, v75                               // 0000000090A4: 0A569792
	v_mul_f32_e32 v44, v147, v76                               // 0000000090A8: 0A589993
	v_mul_f32_e32 v45, v147, v77                               // 0000000090AC: 0A5A9B93
	v_mul_f32_e32 v46, v147, v78                               // 0000000090B0: 0A5C9D93
	v_mul_f32_e32 v47, v147, v79                               // 0000000090B4: 0A5E9F93
	v_mul_f32_e32 v48, v147, v80                               // 0000000090B8: 0A60A193
	v_mul_f32_e32 v49, v147, v81                               // 0000000090BC: 0A62A393
	v_mul_f32_e32 v50, v147, v82                               // 0000000090C0: 0A64A593
	v_mul_f32_e32 v51, v147, v83                               // 0000000090C4: 0A66A793
	v_mul_f32_e32 v52, v147, v84                               // 0000000090C8: 0A68A993
	v_mul_f32_e32 v53, v147, v85                               // 0000000090CC: 0A6AAB93
	v_mul_f32_e32 v54, v147, v86                               // 0000000090D0: 0A6CAD93
	v_mul_f32_e32 v55, v147, v87                               // 0000000090D4: 0A6EAF93
	v_mul_f32_e32 v56, v147, v88                               // 0000000090D8: 0A70B193
	v_mul_f32_e32 v57, v147, v89                               // 0000000090DC: 0A72B393
	v_mul_f32_e32 v58, v147, v90                               // 0000000090E0: 0A74B593
	v_mul_f32_e32 v59, v147, v91                               // 0000000090E4: 0A76B793
	v_cvt_pk_fp8_f32 v28, v28, v29                             // 0000000090E8: D2A2001C 00023B1C
	v_cvt_pk_fp8_f32 v28, v30, v31 op_sel:[0,0,1]              // 0000000090F0: D2A2401C 00023F1E
	v_cvt_pk_fp8_f32 v29, v32, v33                             // 0000000090F8: D2A2001D 00024320
	v_cvt_pk_fp8_f32 v29, v34, v35 op_sel:[0,0,1]              // 000000009100: D2A2401D 00024722
	v_cvt_pk_fp8_f32 v30, v36, v37                             // 000000009108: D2A2001E 00024B24
	v_cvt_pk_fp8_f32 v30, v38, v39 op_sel:[0,0,1]              // 000000009110: D2A2401E 00024F26
	v_cvt_pk_fp8_f32 v31, v40, v41                             // 000000009118: D2A2001F 00025328
	v_cvt_pk_fp8_f32 v31, v42, v43 op_sel:[0,0,1]              // 000000009120: D2A2401F 0002572A
	v_cvt_pk_fp8_f32 v32, v44, v45                             // 000000009128: D2A20020 00025B2C
	v_cvt_pk_fp8_f32 v32, v46, v47 op_sel:[0,0,1]              // 000000009130: D2A24020 00025F2E
	v_cvt_pk_fp8_f32 v33, v48, v49                             // 000000009138: D2A20021 00026330
	v_cvt_pk_fp8_f32 v33, v50, v51 op_sel:[0,0,1]              // 000000009140: D2A24021 00026732
	v_cvt_pk_fp8_f32 v34, v52, v53                             // 000000009148: D2A20022 00026B34
	v_cvt_pk_fp8_f32 v34, v54, v55 op_sel:[0,0,1]              // 000000009150: D2A24022 00026F36
	v_cvt_pk_fp8_f32 v35, v56, v57                             // 000000009158: D2A20023 00027338
	v_cvt_pk_fp8_f32 v35, v58, v59 op_sel:[0,0,1]              // 000000009160: D2A24023 0002773A
	ds_write_b32 v212, v28 offset:4608                         // 000000009168: D81A1200 00001CD4
	ds_write_b32 v212, v29 offset:5632                         // 000000009170: D81A1600 00001DD4
	ds_write_b32 v212, v30 offset:6656                         // 000000009178: D81A1A00 00001ED4
	ds_write_b32 v212, v31 offset:7680                         // 000000009180: D81A1E00 00001FD4
	ds_write_b32 v212, v32 offset:8704                         // 000000009188: D81A2200 000020D4
	ds_write_b32 v212, v33 offset:9728                         // 000000009190: D81A2600 000021D4
	ds_write_b32 v212, v34 offset:10752                        // 000000009198: D81A2A00 000022D4
	ds_write_b32 v212, v35 offset:11776                        // 0000000091A0: D81A2E00 000023D4
	v_rcp_f32_e32 v132, v146                                   // 0000000091A8: 7F084592
	v_rcp_f32_e32 v134, v147                                   // 0000000091AC: 7F0C4593
	v_mov_b32_e32 v133, v132                                   // 0000000091B0: 7F0A0384
	v_mov_b32_e32 v135, v134                                   // 0000000091B4: 7F0E0386
	v_pk_add_f32 v[108:109], v[108:109], v[92:93]              // 0000000091B8: D3B2406C 1802B96C
	v_pk_add_f32 v[110:111], v[110:111], v[94:95]              // 0000000091C0: D3B2406E 1802BD6E
	v_pk_add_f32 v[112:113], v[112:113], v[96:97]              // 0000000091C8: D3B24070 1802C170
	v_pk_add_f32 v[114:115], v[114:115], v[98:99]              // 0000000091D0: D3B24072 1802C572
	v_pk_add_f32 v[116:117], v[116:117], v[100:101]            // 0000000091D8: D3B24074 1802C974
	v_pk_add_f32 v[118:119], v[118:119], v[102:103]            // 0000000091E0: D3B24076 1802CD76
	v_pk_add_f32 v[120:121], v[120:121], v[104:105]            // 0000000091E8: D3B24078 1802D178
	v_pk_add_f32 v[122:123], v[122:123], v[106:107]            // 0000000091F0: D3B2407A 1802D57A
	s_waitcnt lgkmcnt(0)                                       // 0000000091F8: BF8CC07F
	s_barrier                                                  // 0000000091FC: BF8A0000
	ds_read_b128 v[28:31], v213 offset:4608                    // 000000009200: D9FE1200 1C0000D5
	ds_read_b128 v[32:35], v213 offset:5632                    // 000000009208: D9FE1600 200000D5
	ds_read_b128 v[36:39], v213 offset:6656                    // 000000009210: D9FE1A00 240000D5
	ds_read_b128 v[40:43], v213 offset:7680                    // 000000009218: D9FE1E00 280000D5
	ds_read_b128 v[44:47], v213 offset:8704                    // 000000009220: D9FE2200 2C0000D5
	ds_read_b128 v[48:51], v213 offset:9728                    // 000000009228: D9FE2600 300000D5
	ds_read_b128 v[52:55], v213 offset:10752                   // 000000009230: D9FE2A00 340000D5
	ds_read_b128 v[56:59], v213 offset:11776                   // 000000009238: D9FE2E00 380000D5
	s_waitcnt vmcnt(10)                                        // 000000009240: BF8C0F7A
	s_waitcnt lgkmcnt(7)                                       // 000000009244: BF8CC77F
	v_mfma_f32_16x16x32_fp8_fp8 v[92:95], a[96:97], v[28:29], 0// 000000009248: D3F3005C 0A023960
	v_mfma_f32_16x16x32_fp8_fp8 v[96:99], a[112:113], v[28:29], 0// 000000009250: D3F30060 0A023970
	v_mfma_f32_16x16x32_fp8_fp8 v[92:95], a[98:99], v[30:31], v[92:95]// 000000009258: D3F3005C 0D723D62
	buffer_load_dwordx4 a[64:67], v198, s[16:19], 0 offen      // 000000009260: E05C1000 808440C6
	v_mfma_f32_16x16x32_fp8_fp8 v[96:99], a[114:115], v[30:31], v[96:99]// 000000009268: D3F30060 0D823D72
	s_waitcnt lgkmcnt(6)                                       // 000000009270: BF8CC67F
	v_mfma_f32_16x16x32_fp8_fp8 v[92:95], a[100:101], v[32:33], v[92:95]// 000000009274: D3F3005C 0D724164
	v_mfma_f32_16x16x32_fp8_fp8 v[96:99], a[116:117], v[32:33], v[96:99]// 00000000927C: D3F30060 0D824174
	v_mfma_f32_16x16x32_fp8_fp8 v[92:95], a[102:103], v[34:35], v[92:95]// 000000009284: D3F3005C 0D724566
	buffer_load_dwordx4 a[68:71], v199, s[16:19], 0 offen      // 00000000928C: E05C1000 808444C7
	v_mfma_f32_16x16x32_fp8_fp8 v[96:99], a[118:119], v[34:35], v[96:99]// 000000009294: D3F30060 0D824576
	s_waitcnt lgkmcnt(5)                                       // 00000000929C: BF8CC57F
	v_mfma_f32_16x16x32_fp8_fp8 v[92:95], a[104:105], v[36:37], v[92:95]// 0000000092A0: D3F3005C 0D724968
	v_mfma_f32_16x16x32_fp8_fp8 v[96:99], a[120:121], v[36:37], v[96:99]// 0000000092A8: D3F30060 0D824978
	v_mfma_f32_16x16x32_fp8_fp8 v[92:95], a[106:107], v[38:39], v[92:95]// 0000000092B0: D3F3005C 0D724D6A
	buffer_load_dwordx4 a[72:75], v200, s[16:19], 0 offen      // 0000000092B8: E05C1000 808448C8
	v_mfma_f32_16x16x32_fp8_fp8 v[96:99], a[122:123], v[38:39], v[96:99]// 0000000092C0: D3F30060 0D824D7A
	s_waitcnt lgkmcnt(4)                                       // 0000000092C8: BF8CC47F
	v_mfma_f32_16x16x32_fp8_fp8 v[92:95], a[108:109], v[40:41], v[92:95]// 0000000092CC: D3F3005C 0D72516C
	v_mfma_f32_16x16x32_fp8_fp8 v[96:99], a[124:125], v[40:41], v[96:99]// 0000000092D4: D3F30060 0D82517C
	v_mfma_f32_16x16x32_fp8_fp8 v[92:95], a[110:111], v[42:43], v[92:95]// 0000000092DC: D3F3005C 0D72556E
	buffer_load_dwordx4 a[76:79], v201, s[16:19], 0 offen      // 0000000092E4: E05C1000 80844CC9
	v_mfma_f32_16x16x32_fp8_fp8 v[96:99], a[126:127], v[42:43], v[96:99]// 0000000092EC: D3F30060 0D82557E
	s_waitcnt lgkmcnt(3)                                       // 0000000092F4: BF8CC37F
	v_mfma_f32_16x16x32_fp8_fp8 v[100:103], a[96:97], v[44:45], 0// 0000000092F8: D3F30064 0A025960
	v_mfma_f32_16x16x32_fp8_fp8 v[104:107], a[112:113], v[44:45], 0// 000000009300: D3F30068 0A025970
	v_mfma_f32_16x16x32_fp8_fp8 v[100:103], a[98:99], v[46:47], v[100:103]// 000000009308: D3F30064 0D925D62
	buffer_load_dwordx4 a[80:83], v198, s[16:19], 0 offen offset:1024// 000000009310: E05C1400 808450C6
	v_mfma_f32_16x16x32_fp8_fp8 v[104:107], a[114:115], v[46:47], v[104:107]// 000000009318: D3F30068 0DA25D72
	s_waitcnt lgkmcnt(2)                                       // 000000009320: BF8CC27F
	v_mfma_f32_16x16x32_fp8_fp8 v[100:103], a[100:101], v[48:49], v[100:103]// 000000009324: D3F30064 0D926164
	v_mfma_f32_16x16x32_fp8_fp8 v[104:107], a[116:117], v[48:49], v[104:107]// 00000000932C: D3F30068 0DA26174
	v_mfma_f32_16x16x32_fp8_fp8 v[100:103], a[102:103], v[50:51], v[100:103]// 000000009334: D3F30064 0D926566
	buffer_load_dwordx4 a[84:87], v199, s[16:19], 0 offen offset:1024// 00000000933C: E05C1400 808454C7
	v_mfma_f32_16x16x32_fp8_fp8 v[104:107], a[118:119], v[50:51], v[104:107]// 000000009344: D3F30068 0DA26576
	s_waitcnt lgkmcnt(1)                                       // 00000000934C: BF8CC17F
	v_mfma_f32_16x16x32_fp8_fp8 v[100:103], a[104:105], v[52:53], v[100:103]// 000000009350: D3F30064 0D926968
	v_mfma_f32_16x16x32_fp8_fp8 v[104:107], a[120:121], v[52:53], v[104:107]// 000000009358: D3F30068 0DA26978
	v_mfma_f32_16x16x32_fp8_fp8 v[100:103], a[106:107], v[54:55], v[100:103]// 000000009360: D3F30064 0D926D6A
	buffer_load_dwordx4 a[88:91], v200, s[16:19], 0 offen offset:1024// 000000009368: E05C1400 808458C8
	v_mfma_f32_16x16x32_fp8_fp8 v[104:107], a[122:123], v[54:55], v[104:107]// 000000009370: D3F30068 0DA26D7A
	s_waitcnt lgkmcnt(0)                                       // 000000009378: BF8CC07F
	v_mfma_f32_16x16x32_fp8_fp8 v[100:103], a[108:109], v[56:57], v[100:103]// 00000000937C: D3F30064 0D92716C
	v_mfma_f32_16x16x32_fp8_fp8 v[104:107], a[124:125], v[56:57], v[104:107]// 000000009384: D3F30068 0DA2717C
	v_mfma_f32_16x16x32_fp8_fp8 v[100:103], a[110:111], v[58:59], v[100:103]// 00000000938C: D3F30064 0D92756E
	buffer_load_dwordx4 a[92:95], v201, s[16:19], 0 offen offset:1024// 000000009394: E05C1400 80845CC9
	v_mfma_f32_16x16x32_fp8_fp8 v[104:107], a[126:127], v[58:59], v[104:107]// 00000000939C: D3F30068 0DA2757E
	s_addk_i32 s49, 0x100                                      // 0000000093A4: B7310100
	s_branch label_0F7E                                        // 0000000093A8: BF82F2D3

00000000000093ac <label_1CAB>:
	s_cmp_lt_i32 s49, s60                                      // 0000000093AC: BF043C31
	s_cbranch_scc0 label_2D37                                  // 0000000093B0: BF84108A
	s_waitcnt vmcnt(10)                                        // 0000000093B4: BF8C0F7A
	v_mfma_f32_16x16x32_fp8_fp8 v[28:31], a[0:1], v[12:13], 0  // 0000000093B8: D3F3001C 0A021900
	s_add_u32 s12, s84, s64                                    // 0000000093C0: 800C4054
	s_addc_u32 s13, s85, 0                                     // 0000000093C4: 820D8055
	v_mfma_f32_16x16x32_fp8_fp8 v[28:31], a[2:3], v[14:15], v[28:31]// 0000000093C8: D3F3001C 0C721D02
	s_add_u32 s16, s86, s65                                    // 0000000093D0: 80104156
	s_addc_u32 s17, s87, 0                                     // 0000000093D4: 82118057
	v_mfma_f32_16x16x32_fp8_fp8 v[28:31], a[4:5], v[16:17], v[28:31]// 0000000093D8: D3F3001C 0C722104
	buffer_load_dwordx4 a[32:35], v196, s[12:15], 0 offen      // 0000000093E0: E05C1000 808320C4
	v_mfma_f32_16x16x32_fp8_fp8 v[28:31], a[6:7], v[18:19], v[28:31]// 0000000093E8: D3F3001C 0C722506
	s_add_u32 s28, s88, s66                                    // 0000000093F0: 801C4258
	s_addc_u32 s29, s89, 0                                     // 0000000093F4: 821D8059
	v_mfma_f32_16x16x32_fp8_fp8 v[32:35], a[8:9], v[12:13], 0  // 0000000093F8: D3F30020 0A021908
	s_add_u32 s32, s90, s66                                    // 000000009400: 8020425A
	s_addc_u32 s33, s91, 0                                     // 000000009404: 8221805B
	v_mfma_f32_16x16x32_fp8_fp8 v[32:35], a[10:11], v[14:15], v[32:35]// 000000009408: D3F30020 0C821D0A
	s_add_u32 s64, s64, 0x1000                                 // 000000009410: 8040FF40 00001000
	s_add_u32 s65, s65, 0x8000                                 // 000000009418: 8041FF41 00008000
	v_mfma_f32_16x16x32_fp8_fp8 v[32:35], a[12:13], v[16:17], v[32:35]// 000000009420: D3F30020 0C82210C
	buffer_load_dwordx4 a[36:39], v197, s[12:15], 0 offen      // 000000009428: E05C1000 808324C5
	v_mfma_f32_16x16x32_fp8_fp8 v[32:35], a[14:15], v[18:19], v[32:35]// 000000009430: D3F30020 0C82250E
	s_add_u32 s66, s66, 0x400                                  // 000000009438: 8042FF42 00000400
	v_mfma_f32_16x16x32_fp8_fp8 v[36:39], a[16:17], v[12:13], 0// 000000009440: D3F30024 0A021910
	v_mfma_f32_16x16x32_fp8_fp8 v[36:39], a[18:19], v[14:15], v[36:39]// 000000009448: D3F30024 0C921D12
	v_mfma_f32_16x16x32_fp8_fp8 v[36:39], a[20:21], v[16:17], v[36:39]// 000000009450: D3F30024 0C922114
	buffer_load_dwordx4 a[40:43], v196, s[12:15], 0 offen offset:1024// 000000009458: E05C1400 808328C4
	v_mfma_f32_16x16x32_fp8_fp8 v[36:39], a[22:23], v[18:19], v[36:39]// 000000009460: D3F30024 0C922516
	v_mfma_f32_16x16x32_fp8_fp8 v[40:43], a[24:25], v[12:13], 0// 000000009468: D3F30028 0A021918
	v_mfma_f32_16x16x32_fp8_fp8 v[40:43], a[26:27], v[14:15], v[40:43]// 000000009470: D3F30028 0CA21D1A
	v_mfma_f32_16x16x32_fp8_fp8 v[40:43], a[28:29], v[16:17], v[40:43]// 000000009478: D3F30028 0CA2211C
	buffer_load_dwordx4 a[44:47], v197, s[12:15], 0 offen offset:1024// 000000009480: E05C1400 80832CC5
	v_mfma_f32_16x16x32_fp8_fp8 v[40:43], a[30:31], v[18:19], v[40:43]// 000000009488: D3F30028 0CA2251E
	v_mfma_f32_16x16x32_fp8_fp8 v[44:47], a[0:1], v[20:21], 0  // 000000009490: D3F3002C 0A022900
	v_mfma_f32_16x16x32_fp8_fp8 v[44:47], a[2:3], v[22:23], v[44:47]// 000000009498: D3F3002C 0CB22D02
	v_mfma_f32_16x16x32_fp8_fp8 v[44:47], a[4:5], v[24:25], v[44:47]// 0000000094A0: D3F3002C 0CB23104
	buffer_load_dwordx4 a[48:51], v196, s[12:15], 0 offen offset:2048// 0000000094A8: E05C1800 808330C4
	v_mfma_f32_16x16x32_fp8_fp8 v[44:47], a[6:7], v[26:27], v[44:47]// 0000000094B0: D3F3002C 0CB23506
	v_mfma_f32_16x16x32_fp8_fp8 v[48:51], a[8:9], v[20:21], 0  // 0000000094B8: D3F30030 0A022908
	v_mfma_f32_16x16x32_fp8_fp8 v[48:51], a[10:11], v[22:23], v[48:51]// 0000000094C0: D3F30030 0CC22D0A
	v_mfma_f32_16x16x32_fp8_fp8 v[48:51], a[12:13], v[24:25], v[48:51]// 0000000094C8: D3F30030 0CC2310C
	buffer_load_dwordx4 a[52:55], v197, s[12:15], 0 offen offset:2048// 0000000094D0: E05C1800 808334C5
	v_mfma_f32_16x16x32_fp8_fp8 v[48:51], a[14:15], v[26:27], v[48:51]// 0000000094D8: D3F30030 0CC2350E
	v_mfma_f32_16x16x32_fp8_fp8 v[52:55], a[16:17], v[20:21], 0// 0000000094E0: D3F30034 0A022910
	v_mfma_f32_16x16x32_fp8_fp8 v[52:55], a[18:19], v[22:23], v[52:55]// 0000000094E8: D3F30034 0CD22D12
	v_mfma_f32_16x16x32_fp8_fp8 v[52:55], a[20:21], v[24:25], v[52:55]// 0000000094F0: D3F30034 0CD23114
	buffer_load_dwordx4 a[56:59], v196, s[12:15], 0 offen offset:3072// 0000000094F8: E05C1C00 808338C4
	v_mfma_f32_16x16x32_fp8_fp8 v[52:55], a[22:23], v[26:27], v[52:55]// 000000009500: D3F30034 0CD23516
	v_mfma_f32_16x16x32_fp8_fp8 v[56:59], a[24:25], v[20:21], 0// 000000009508: D3F30038 0A022918
	v_mfma_f32_16x16x32_fp8_fp8 v[56:59], a[26:27], v[22:23], v[56:59]// 000000009510: D3F30038 0CE22D1A
	v_mfma_f32_16x16x32_fp8_fp8 v[56:59], a[28:29], v[24:25], v[56:59]// 000000009518: D3F30038 0CE2311C
	buffer_load_dwordx4 a[60:63], v197, s[12:15], 0 offen offset:3072// 000000009520: E05C1C00 80833CC5
	v_mfma_f32_16x16x32_fp8_fp8 v[56:59], a[30:31], v[26:27], v[56:59]// 000000009528: D3F30038 0CE2351E
	s_waitcnt vmcnt(16)                                        // 000000009530: BF8C4F70
	v_pk_mul_f32 v[28:29], v[124:125], v[28:29]                // 000000009534: D3B1401C 1802397C
	v_pk_mul_f32 v[30:31], v[124:125], v[30:31]                // 00000000953C: D3B1401E 18023D7C
	v_mul_f32_dpp v28, v128, v28 row_newbcast:0 row_mask:0xf bank_mask:0xf// 000000009544: 0A3838FA FF015080
	v_mul_f32_dpp v29, v128, v29 row_newbcast:1 row_mask:0xf bank_mask:0xf// 00000000954C: 0A3A3AFA FF015180
	v_mul_f32_dpp v30, v128, v30 row_newbcast:2 row_mask:0xf bank_mask:0xf// 000000009554: 0A3C3CFA FF015280
	v_mul_f32_dpp v31, v128, v31 row_newbcast:3 row_mask:0xf bank_mask:0xf// 00000000955C: 0A3E3EFA FF015380
	v_pk_mul_f32 v[32:33], v[124:125], v[32:33]                // 000000009564: D3B14020 1802417C
	v_pk_mul_f32 v[34:35], v[124:125], v[34:35]                // 00000000956C: D3B14022 1802457C
	v_mul_f32_dpp v32, v128, v32 row_newbcast:4 row_mask:0xf bank_mask:0xf// 000000009574: 0A4040FA FF015480
	v_mul_f32_dpp v33, v128, v33 row_newbcast:5 row_mask:0xf bank_mask:0xf// 00000000957C: 0A4242FA FF015580
	v_mul_f32_dpp v34, v128, v34 row_newbcast:6 row_mask:0xf bank_mask:0xf// 000000009584: 0A4444FA FF015680
	v_mul_f32_dpp v35, v128, v35 row_newbcast:7 row_mask:0xf bank_mask:0xf// 00000000958C: 0A4646FA FF015780
	v_pk_mul_f32 v[36:37], v[124:125], v[36:37]                // 000000009594: D3B14024 1802497C
	v_pk_mul_f32 v[38:39], v[124:125], v[38:39]                // 00000000959C: D3B14026 18024D7C
	v_mul_f32_dpp v36, v128, v36 row_newbcast:8 row_mask:0xf bank_mask:0xf// 0000000095A4: 0A4848FA FF015880
	v_mul_f32_dpp v37, v128, v37 row_newbcast:9 row_mask:0xf bank_mask:0xf// 0000000095AC: 0A4A4AFA FF015980
	v_mul_f32_dpp v38, v128, v38 row_newbcast:10 row_mask:0xf bank_mask:0xf// 0000000095B4: 0A4C4CFA FF015A80
	v_mul_f32_dpp v39, v128, v39 row_newbcast:11 row_mask:0xf bank_mask:0xf// 0000000095BC: 0A4E4EFA FF015B80
	v_pk_mul_f32 v[40:41], v[124:125], v[40:41]                // 0000000095C4: D3B14028 1802517C
	v_pk_mul_f32 v[42:43], v[124:125], v[42:43]                // 0000000095CC: D3B1402A 1802557C
	v_mul_f32_dpp v40, v128, v40 row_newbcast:12 row_mask:0xf bank_mask:0xf// 0000000095D4: 0A5050FA FF015C80
	v_mul_f32_dpp v41, v128, v41 row_newbcast:13 row_mask:0xf bank_mask:0xf// 0000000095DC: 0A5252FA FF015D80
	v_mul_f32_dpp v42, v128, v42 row_newbcast:14 row_mask:0xf bank_mask:0xf// 0000000095E4: 0A5454FA FF015E80
	v_mul_f32_dpp v43, v128, v43 row_newbcast:15 row_mask:0xf bank_mask:0xf// 0000000095EC: 0A5656FA FF015F80
	v_pk_mul_f32 v[44:45], v[126:127], v[44:45]                // 0000000095F4: D3B1402C 1802597E
	v_pk_mul_f32 v[46:47], v[126:127], v[46:47]                // 0000000095FC: D3B1402E 18025D7E
	v_mul_f32_dpp v44, v128, v44 row_newbcast:0 row_mask:0xf bank_mask:0xf// 000000009604: 0A5858FA FF015080
	v_mul_f32_dpp v45, v128, v45 row_newbcast:1 row_mask:0xf bank_mask:0xf// 00000000960C: 0A5A5AFA FF015180
	v_mul_f32_dpp v46, v128, v46 row_newbcast:2 row_mask:0xf bank_mask:0xf// 000000009614: 0A5C5CFA FF015280
	v_mul_f32_dpp v47, v128, v47 row_newbcast:3 row_mask:0xf bank_mask:0xf// 00000000961C: 0A5E5EFA FF015380
	v_pk_mul_f32 v[48:49], v[126:127], v[48:49]                // 000000009624: D3B14030 1802617E
	v_pk_mul_f32 v[50:51], v[126:127], v[50:51]                // 00000000962C: D3B14032 1802657E
	v_mul_f32_dpp v48, v128, v48 row_newbcast:4 row_mask:0xf bank_mask:0xf// 000000009634: 0A6060FA FF015480
	v_mul_f32_dpp v49, v128, v49 row_newbcast:5 row_mask:0xf bank_mask:0xf// 00000000963C: 0A6262FA FF015580
	v_mul_f32_dpp v50, v128, v50 row_newbcast:6 row_mask:0xf bank_mask:0xf// 000000009644: 0A6464FA FF015680
	v_mul_f32_dpp v51, v128, v51 row_newbcast:7 row_mask:0xf bank_mask:0xf// 00000000964C: 0A6666FA FF015780
	v_pk_mul_f32 v[52:53], v[126:127], v[52:53]                // 000000009654: D3B14034 1802697E
	v_pk_mul_f32 v[54:55], v[126:127], v[54:55]                // 00000000965C: D3B14036 18026D7E
	v_mul_f32_dpp v52, v128, v52 row_newbcast:8 row_mask:0xf bank_mask:0xf// 000000009664: 0A6868FA FF015880
	v_mul_f32_dpp v53, v128, v53 row_newbcast:9 row_mask:0xf bank_mask:0xf// 00000000966C: 0A6A6AFA FF015980
	v_mul_f32_dpp v54, v128, v54 row_newbcast:10 row_mask:0xf bank_mask:0xf// 000000009674: 0A6C6CFA FF015A80
	v_mul_f32_dpp v55, v128, v55 row_newbcast:11 row_mask:0xf bank_mask:0xf// 00000000967C: 0A6E6EFA FF015B80
	v_pk_mul_f32 v[56:57], v[126:127], v[56:57]                // 000000009684: D3B14038 1802717E
	v_pk_mul_f32 v[58:59], v[126:127], v[58:59]                // 00000000968C: D3B1403A 1802757E
	v_mul_f32_dpp v56, v128, v56 row_newbcast:12 row_mask:0xf bank_mask:0xf// 000000009694: 0A7070FA FF015C80
	v_mul_f32_dpp v57, v128, v57 row_newbcast:13 row_mask:0xf bank_mask:0xf// 00000000969C: 0A7272FA FF015D80
	v_mul_f32_dpp v58, v128, v58 row_newbcast:14 row_mask:0xf bank_mask:0xf// 0000000096A4: 0A7474FA FF015E80
	v_mul_f32_dpp v59, v128, v59 row_newbcast:15 row_mask:0xf bank_mask:0xf// 0000000096AC: 0A7676FA FF015F80
	v_add_u32_e32 v180, s49, v190                              // 0000000096B4: 69697C31
	v_add_u32_e32 v181, 0, v180                                // 0000000096B8: 696B6880
	v_cmp_lt_u32_e64 s[92:93], v181, v188                      // 0000000096BC: D0C9005C 000379B5
	s_nop 0                                                    // 0000000096C4: BF800000
	v_cndmask_b32_e64 v28, v191, v28, s[92:93]                 // 0000000096C8: D100001C 017239BF
	v_add_u32_e32 v181, 1, v180                                // 0000000096D0: 696B6881
	v_cmp_lt_u32_e64 s[92:93], v181, v188                      // 0000000096D4: D0C9005C 000379B5
	s_nop 0                                                    // 0000000096DC: BF800000
	v_cndmask_b32_e64 v29, v191, v29, s[92:93]                 // 0000000096E0: D100001D 01723BBF
	v_add_u32_e32 v181, 2, v180                                // 0000000096E8: 696B6882
	v_cmp_lt_u32_e64 s[92:93], v181, v188                      // 0000000096EC: D0C9005C 000379B5
	s_nop 0                                                    // 0000000096F4: BF800000
	v_cndmask_b32_e64 v30, v191, v30, s[92:93]                 // 0000000096F8: D100001E 01723DBF
	v_add_u32_e32 v181, 3, v180                                // 000000009700: 696B6883
	v_cmp_lt_u32_e64 s[92:93], v181, v188                      // 000000009704: D0C9005C 000379B5
	s_nop 0                                                    // 00000000970C: BF800000
	v_cndmask_b32_e64 v31, v191, v31, s[92:93]                 // 000000009710: D100001F 01723FBF
	v_add_u32_e32 v181, 64, v180                               // 000000009718: 696B68C0
	v_cmp_lt_u32_e64 s[92:93], v181, v188                      // 00000000971C: D0C9005C 000379B5
	s_nop 0                                                    // 000000009724: BF800000
	v_cndmask_b32_e64 v32, v191, v32, s[92:93]                 // 000000009728: D1000020 017241BF
	v_add_u32_e32 v181, 0x41, v180                             // 000000009730: 696B68FF 00000041
	v_cmp_lt_u32_e64 s[92:93], v181, v188                      // 000000009738: D0C9005C 000379B5
	s_nop 0                                                    // 000000009740: BF800000
	v_cndmask_b32_e64 v33, v191, v33, s[92:93]                 // 000000009744: D1000021 017243BF
	v_add_u32_e32 v181, 0x42, v180                             // 00000000974C: 696B68FF 00000042
	v_cmp_lt_u32_e64 s[92:93], v181, v188                      // 000000009754: D0C9005C 000379B5
	s_nop 0                                                    // 00000000975C: BF800000
	v_cndmask_b32_e64 v34, v191, v34, s[92:93]                 // 000000009760: D1000022 017245BF
	v_add_u32_e32 v181, 0x43, v180                             // 000000009768: 696B68FF 00000043
	v_cmp_lt_u32_e64 s[92:93], v181, v188                      // 000000009770: D0C9005C 000379B5
	s_nop 0                                                    // 000000009778: BF800000
	v_cndmask_b32_e64 v35, v191, v35, s[92:93]                 // 00000000977C: D1000023 017247BF
	v_add_u32_e32 v181, 0x80, v180                             // 000000009784: 696B68FF 00000080
	v_cmp_lt_u32_e64 s[92:93], v181, v188                      // 00000000978C: D0C9005C 000379B5
	s_nop 0                                                    // 000000009794: BF800000
	v_cndmask_b32_e64 v36, v191, v36, s[92:93]                 // 000000009798: D1000024 017249BF
	v_add_u32_e32 v181, 0x81, v180                             // 0000000097A0: 696B68FF 00000081
	v_cmp_lt_u32_e64 s[92:93], v181, v188                      // 0000000097A8: D0C9005C 000379B5
	s_nop 0                                                    // 0000000097B0: BF800000
	v_cndmask_b32_e64 v37, v191, v37, s[92:93]                 // 0000000097B4: D1000025 01724BBF
	v_add_u32_e32 v181, 0x82, v180                             // 0000000097BC: 696B68FF 00000082
	v_cmp_lt_u32_e64 s[92:93], v181, v188                      // 0000000097C4: D0C9005C 000379B5
	s_nop 0                                                    // 0000000097CC: BF800000
	v_cndmask_b32_e64 v38, v191, v38, s[92:93]                 // 0000000097D0: D1000026 01724DBF
	v_add_u32_e32 v181, 0x83, v180                             // 0000000097D8: 696B68FF 00000083
	v_cmp_lt_u32_e64 s[92:93], v181, v188                      // 0000000097E0: D0C9005C 000379B5
	s_nop 0                                                    // 0000000097E8: BF800000
	v_cndmask_b32_e64 v39, v191, v39, s[92:93]                 // 0000000097EC: D1000027 01724FBF
	v_add_u32_e32 v181, 0xc0, v180                             // 0000000097F4: 696B68FF 000000C0
	v_cmp_lt_u32_e64 s[92:93], v181, v188                      // 0000000097FC: D0C9005C 000379B5
	s_nop 0                                                    // 000000009804: BF800000
	v_cndmask_b32_e64 v40, v191, v40, s[92:93]                 // 000000009808: D1000028 017251BF
	v_add_u32_e32 v181, 0xc1, v180                             // 000000009810: 696B68FF 000000C1
	v_cmp_lt_u32_e64 s[92:93], v181, v188                      // 000000009818: D0C9005C 000379B5
	s_nop 0                                                    // 000000009820: BF800000
	v_cndmask_b32_e64 v41, v191, v41, s[92:93]                 // 000000009824: D1000029 017253BF
	v_add_u32_e32 v181, 0xc2, v180                             // 00000000982C: 696B68FF 000000C2
	v_cmp_lt_u32_e64 s[92:93], v181, v188                      // 000000009834: D0C9005C 000379B5
	s_nop 0                                                    // 00000000983C: BF800000
	v_cndmask_b32_e64 v42, v191, v42, s[92:93]                 // 000000009840: D100002A 017255BF
	v_add_u32_e32 v181, 0xc3, v180                             // 000000009848: 696B68FF 000000C3
	v_cmp_lt_u32_e64 s[92:93], v181, v188                      // 000000009850: D0C9005C 000379B5
	s_nop 0                                                    // 000000009858: BF800000
	v_cndmask_b32_e64 v43, v191, v43, s[92:93]                 // 00000000985C: D100002B 017257BF
	v_add_u32_e32 v181, 0, v180                                // 000000009864: 696B6880
	v_cmp_lt_u32_e64 s[92:93], v181, v189                      // 000000009868: D0C9005C 00037BB5
	s_nop 0                                                    // 000000009870: BF800000
	v_cndmask_b32_e64 v44, v191, v44, s[92:93]                 // 000000009874: D100002C 017259BF
	v_add_u32_e32 v181, 1, v180                                // 00000000987C: 696B6881
	v_cmp_lt_u32_e64 s[92:93], v181, v189                      // 000000009880: D0C9005C 00037BB5
	s_nop 0                                                    // 000000009888: BF800000
	v_cndmask_b32_e64 v45, v191, v45, s[92:93]                 // 00000000988C: D100002D 01725BBF
	v_add_u32_e32 v181, 2, v180                                // 000000009894: 696B6882
	v_cmp_lt_u32_e64 s[92:93], v181, v189                      // 000000009898: D0C9005C 00037BB5
	s_nop 0                                                    // 0000000098A0: BF800000
	v_cndmask_b32_e64 v46, v191, v46, s[92:93]                 // 0000000098A4: D100002E 01725DBF
	v_add_u32_e32 v181, 3, v180                                // 0000000098AC: 696B6883
	v_cmp_lt_u32_e64 s[92:93], v181, v189                      // 0000000098B0: D0C9005C 00037BB5
	s_nop 0                                                    // 0000000098B8: BF800000
	v_cndmask_b32_e64 v47, v191, v47, s[92:93]                 // 0000000098BC: D100002F 01725FBF
	v_add_u32_e32 v181, 64, v180                               // 0000000098C4: 696B68C0
	v_cmp_lt_u32_e64 s[92:93], v181, v189                      // 0000000098C8: D0C9005C 00037BB5
	s_nop 0                                                    // 0000000098D0: BF800000
	v_cndmask_b32_e64 v48, v191, v48, s[92:93]                 // 0000000098D4: D1000030 017261BF
	v_add_u32_e32 v181, 0x41, v180                             // 0000000098DC: 696B68FF 00000041
	v_cmp_lt_u32_e64 s[92:93], v181, v189                      // 0000000098E4: D0C9005C 00037BB5
	s_nop 0                                                    // 0000000098EC: BF800000
	v_cndmask_b32_e64 v49, v191, v49, s[92:93]                 // 0000000098F0: D1000031 017263BF
	v_add_u32_e32 v181, 0x42, v180                             // 0000000098F8: 696B68FF 00000042
	v_cmp_lt_u32_e64 s[92:93], v181, v189                      // 000000009900: D0C9005C 00037BB5
	s_nop 0                                                    // 000000009908: BF800000
	v_cndmask_b32_e64 v50, v191, v50, s[92:93]                 // 00000000990C: D1000032 017265BF
	v_add_u32_e32 v181, 0x43, v180                             // 000000009914: 696B68FF 00000043
	v_cmp_lt_u32_e64 s[92:93], v181, v189                      // 00000000991C: D0C9005C 00037BB5
	s_nop 0                                                    // 000000009924: BF800000
	v_cndmask_b32_e64 v51, v191, v51, s[92:93]                 // 000000009928: D1000033 017267BF
	v_add_u32_e32 v181, 0x80, v180                             // 000000009930: 696B68FF 00000080
	v_cmp_lt_u32_e64 s[92:93], v181, v189                      // 000000009938: D0C9005C 00037BB5
	s_nop 0                                                    // 000000009940: BF800000
	v_cndmask_b32_e64 v52, v191, v52, s[92:93]                 // 000000009944: D1000034 017269BF
	v_add_u32_e32 v181, 0x81, v180                             // 00000000994C: 696B68FF 00000081
	v_cmp_lt_u32_e64 s[92:93], v181, v189                      // 000000009954: D0C9005C 00037BB5
	s_nop 0                                                    // 00000000995C: BF800000
	v_cndmask_b32_e64 v53, v191, v53, s[92:93]                 // 000000009960: D1000035 01726BBF
	v_add_u32_e32 v181, 0x82, v180                             // 000000009968: 696B68FF 00000082
	v_cmp_lt_u32_e64 s[92:93], v181, v189                      // 000000009970: D0C9005C 00037BB5
	s_nop 0                                                    // 000000009978: BF800000
	v_cndmask_b32_e64 v54, v191, v54, s[92:93]                 // 00000000997C: D1000036 01726DBF
	v_add_u32_e32 v181, 0x83, v180                             // 000000009984: 696B68FF 00000083
	v_cmp_lt_u32_e64 s[92:93], v181, v189                      // 00000000998C: D0C9005C 00037BB5
	s_nop 0                                                    // 000000009994: BF800000
	v_cndmask_b32_e64 v55, v191, v55, s[92:93]                 // 000000009998: D1000037 01726FBF
	v_add_u32_e32 v181, 0xc0, v180                             // 0000000099A0: 696B68FF 000000C0
	v_cmp_lt_u32_e64 s[92:93], v181, v189                      // 0000000099A8: D0C9005C 00037BB5
	s_nop 0                                                    // 0000000099B0: BF800000
	v_cndmask_b32_e64 v56, v191, v56, s[92:93]                 // 0000000099B4: D1000038 017271BF
	v_add_u32_e32 v181, 0xc1, v180                             // 0000000099BC: 696B68FF 000000C1
	v_cmp_lt_u32_e64 s[92:93], v181, v189                      // 0000000099C4: D0C9005C 00037BB5
	s_nop 0                                                    // 0000000099CC: BF800000
	v_cndmask_b32_e64 v57, v191, v57, s[92:93]                 // 0000000099D0: D1000039 017273BF
	v_add_u32_e32 v181, 0xc2, v180                             // 0000000099D8: 696B68FF 000000C2
	v_cmp_lt_u32_e64 s[92:93], v181, v189                      // 0000000099E0: D0C9005C 00037BB5
	s_nop 0                                                    // 0000000099E8: BF800000
	v_cndmask_b32_e64 v58, v191, v58, s[92:93]                 // 0000000099EC: D100003A 017275BF
	v_add_u32_e32 v181, 0xc3, v180                             // 0000000099F4: 696B68FF 000000C3
	v_cmp_lt_u32_e64 s[92:93], v181, v189                      // 0000000099FC: D0C9005C 00037BB5
	s_nop 0                                                    // 000000009A04: BF800000
	v_cndmask_b32_e64 v59, v191, v59, s[92:93]                 // 000000009A08: D100003B 017277BF
	v_mov_b32_e32 v146, v28                                    // 000000009A10: 7F24031C
	v_max3_f32 v146, v28, v29, v146                            // 000000009A14: D1D30092 064A3B1C
	v_max3_f32 v146, v30, v31, v146                            // 000000009A1C: D1D30092 064A3F1E
	v_max3_f32 v146, v32, v33, v146                            // 000000009A24: D1D30092 064A4320
	v_max3_f32 v146, v34, v35, v146                            // 000000009A2C: D1D30092 064A4722
	v_max3_f32 v146, v36, v37, v146                            // 000000009A34: D1D30092 064A4B24
	v_max3_f32 v146, v38, v39, v146                            // 000000009A3C: D1D30092 064A4F26
	v_max3_f32 v146, v40, v41, v146                            // 000000009A44: D1D30092 064A5328
	v_max3_f32 v146, v42, v43, v146                            // 000000009A4C: D1D30092 064A572A
	v_mov_b32_e32 v147, v44                                    // 000000009A54: 7F26032C
	v_max3_f32 v147, v44, v45, v147                            // 000000009A58: D1D30093 064E5B2C
	v_max3_f32 v147, v46, v47, v147                            // 000000009A60: D1D30093 064E5F2E
	v_max3_f32 v147, v48, v49, v147                            // 000000009A68: D1D30093 064E6330
	v_max3_f32 v147, v50, v51, v147                            // 000000009A70: D1D30093 064E6732
	v_max3_f32 v147, v52, v53, v147                            // 000000009A78: D1D30093 064E6B34
	v_max3_f32 v147, v54, v55, v147                            // 000000009A80: D1D30093 064E6F36
	v_max3_f32 v147, v56, v57, v147                            // 000000009A88: D1D30093 064E7338
	v_max3_f32 v147, v58, v59, v147                            // 000000009A90: D1D30093 064E773A
	ds_write_b64 v210, v[146:147]                              // 000000009A98: D89A0000 000092D2
	v_pk_mul_f32 v[108:109], v[140:141], v[108:109]            // 000000009AA0: D3B1406C 1802D98C
	v_pk_mul_f32 v[110:111], v[140:141], v[110:111]            // 000000009AA8: D3B1406E 1802DD8C
	v_pk_mul_f32 v[112:113], v[140:141], v[112:113]            // 000000009AB0: D3B14070 1802E18C
	v_pk_mul_f32 v[114:115], v[140:141], v[114:115]            // 000000009AB8: D3B14072 1802E58C
	v_pk_mul_f32 v[116:117], v[142:143], v[116:117]            // 000000009AC0: D3B14074 1802E98E
	v_pk_mul_f32 v[118:119], v[142:143], v[118:119]            // 000000009AC8: D3B14076 1802ED8E
	v_pk_mul_f32 v[120:121], v[142:143], v[120:121]            // 000000009AD0: D3B14078 1802F18E
	v_pk_mul_f32 v[122:123], v[142:143], v[122:123]            // 000000009AD8: D3B1407A 1802F58E
	s_waitcnt lgkmcnt(0)                                       // 000000009AE0: BF8CC07F
	s_barrier                                                  // 000000009AE4: BF8A0000
	ds_read_b64 v[148:149], v211                               // 000000009AE8: D8EC0000 940000D3
	ds_read_b64 v[150:151], v211 offset:128                    // 000000009AF0: D8EC0080 960000D3
	ds_read_b64 v[152:153], v211 offset:256                    // 000000009AF8: D8EC0100 980000D3
	ds_read_b64 v[154:155], v211 offset:384                    // 000000009B00: D8EC0180 9A0000D3
	ds_read_b64 v[156:157], v211 offset:512                    // 000000009B08: D8EC0200 9C0000D3
	ds_read_b64 v[158:159], v211 offset:640                    // 000000009B10: D8EC0280 9E0000D3
	ds_read_b64 v[160:161], v211 offset:768                    // 000000009B18: D8EC0300 A00000D3
	ds_read_b64 v[162:163], v211 offset:896                    // 000000009B20: D8EC0380 A20000D3
	ds_read_b64 v[164:165], v211 offset:1024                   // 000000009B28: D8EC0400 A40000D3
	ds_read_b64 v[166:167], v211 offset:1152                   // 000000009B30: D8EC0480 A60000D3
	ds_read_b64 v[168:169], v211 offset:1280                   // 000000009B38: D8EC0500 A80000D3
	ds_read_b64 v[170:171], v211 offset:1408                   // 000000009B40: D8EC0580 AA0000D3
	ds_read_b64 v[172:173], v211 offset:1536                   // 000000009B48: D8EC0600 AC0000D3
	ds_read_b64 v[174:175], v211 offset:1664                   // 000000009B50: D8EC0680 AE0000D3
	ds_read_b64 v[176:177], v211 offset:1792                   // 000000009B58: D8EC0700 B00000D3
	ds_read_b64 v[178:179], v211 offset:1920                   // 000000009B60: D8EC0780 B20000D3
	v_pk_mul_f32 v[92:93], v[132:133], v[92:93]                // 000000009B68: D3B1405C 1802B984
	v_pk_mul_f32 v[94:95], v[132:133], v[94:95]                // 000000009B70: D3B1405E 1802BD84
	v_pk_mul_f32 v[96:97], v[132:133], v[96:97]                // 000000009B78: D3B14060 1802C184
	v_pk_mul_f32 v[98:99], v[132:133], v[98:99]                // 000000009B80: D3B14062 1802C584
	v_pk_mul_f32 v[100:101], v[134:135], v[100:101]            // 000000009B88: D3B14064 1802C986
	v_pk_mul_f32 v[102:103], v[134:135], v[102:103]            // 000000009B90: D3B14066 1802CD86
	v_pk_mul_f32 v[104:105], v[134:135], v[104:105]            // 000000009B98: D3B14068 1802D186
	v_pk_mul_f32 v[106:107], v[134:135], v[106:107]            // 000000009BA0: D3B1406A 1802D586
	s_waitcnt lgkmcnt(0)                                       // 000000009BA8: BF8CC07F
	v_max3_f32 v146, v148, v150, v146                          // 000000009BAC: D1D30092 064B2D94
	v_max3_f32 v147, v149, v151, v147                          // 000000009BB4: D1D30093 064F2F95
	v_max3_f32 v146, v152, v154, v146                          // 000000009BBC: D1D30092 064B3598
	v_max3_f32 v147, v153, v155, v147                          // 000000009BC4: D1D30093 064F3799
	v_max3_f32 v146, v156, v158, v146                          // 000000009BCC: D1D30092 064B3D9C
	v_max3_f32 v147, v157, v159, v147                          // 000000009BD4: D1D30093 064F3F9D
	v_max3_f32 v146, v160, v162, v146                          // 000000009BDC: D1D30092 064B45A0
	v_max3_f32 v147, v161, v163, v147                          // 000000009BE4: D1D30093 064F47A1
	v_max3_f32 v146, v164, v166, v146                          // 000000009BEC: D1D30092 064B4DA4
	v_max3_f32 v147, v165, v167, v147                          // 000000009BF4: D1D30093 064F4FA5
	v_max3_f32 v146, v168, v170, v146                          // 000000009BFC: D1D30092 064B55A8
	v_max3_f32 v147, v169, v171, v147                          // 000000009C04: D1D30093 064F57A9
	v_max3_f32 v146, v172, v174, v146                          // 000000009C0C: D1D30092 064B5DAC
	v_max3_f32 v147, v173, v175, v147                          // 000000009C14: D1D30093 064F5FAD
	v_max3_f32 v146, v176, v178, v146                          // 000000009C1C: D1D30092 064B65B0
	v_max3_f32 v147, v177, v179, v147                          // 000000009C24: D1D30093 064F67B1
	v_max_f32_e32 v138, v146, v136                             // 000000009C2C: 17151192
	v_mul_f32_e64 v180, -s51, v138                             // 000000009C30: D10500B4 20031433
	v_mov_b32_e32 v181, v180                                   // 000000009C38: 7F6A03B4
	v_pk_fma_f32 v[28:29], v[28:29], s[68:69], v[180:181]      // 000000009C3C: D3B0401C 1ED0891C
	v_pk_fma_f32 v[30:31], v[30:31], s[68:69], v[180:181]      // 000000009C44: D3B0401E 1ED0891E
	v_exp_f32_e32 v28, v28                                     // 000000009C4C: 7E38411C
	v_exp_f32_e32 v29, v29                                     // 000000009C50: 7E3A411D
	v_exp_f32_e32 v30, v30                                     // 000000009C54: 7E3C411E
	v_exp_f32_e32 v31, v31                                     // 000000009C58: 7E3E411F
	v_pk_fma_f32 v[32:33], v[32:33], s[68:69], v[180:181]      // 000000009C5C: D3B04020 1ED08920
	v_pk_fma_f32 v[34:35], v[34:35], s[68:69], v[180:181]      // 000000009C64: D3B04022 1ED08922
	v_exp_f32_e32 v32, v32                                     // 000000009C6C: 7E404120
	v_exp_f32_e32 v33, v33                                     // 000000009C70: 7E424121
	v_exp_f32_e32 v34, v34                                     // 000000009C74: 7E444122
	v_exp_f32_e32 v35, v35                                     // 000000009C78: 7E464123
	v_pk_fma_f32 v[36:37], v[36:37], s[68:69], v[180:181]      // 000000009C7C: D3B04024 1ED08924
	v_pk_fma_f32 v[38:39], v[38:39], s[68:69], v[180:181]      // 000000009C84: D3B04026 1ED08926
	v_exp_f32_e32 v36, v36                                     // 000000009C8C: 7E484124
	v_exp_f32_e32 v37, v37                                     // 000000009C90: 7E4A4125
	v_exp_f32_e32 v38, v38                                     // 000000009C94: 7E4C4126
	v_exp_f32_e32 v39, v39                                     // 000000009C98: 7E4E4127
	v_pk_fma_f32 v[40:41], v[40:41], s[68:69], v[180:181]      // 000000009C9C: D3B04028 1ED08928
	v_pk_fma_f32 v[42:43], v[42:43], s[68:69], v[180:181]      // 000000009CA4: D3B0402A 1ED0892A
	v_exp_f32_e32 v40, v40                                     // 000000009CAC: 7E504128
	v_exp_f32_e32 v41, v41                                     // 000000009CB0: 7E524129
	v_exp_f32_e32 v42, v42                                     // 000000009CB4: 7E54412A
	v_exp_f32_e32 v43, v43                                     // 000000009CB8: 7E56412B
	v_max_f32_e32 v139, v147, v137                             // 000000009CBC: 17171393
	v_mul_f32_e64 v180, -s51, v139                             // 000000009CC0: D10500B4 20031633
	v_mov_b32_e32 v181, v180                                   // 000000009CC8: 7F6A03B4
	v_pk_fma_f32 v[44:45], v[44:45], s[68:69], v[180:181]      // 000000009CCC: D3B0402C 1ED0892C
	v_pk_fma_f32 v[46:47], v[46:47], s[68:69], v[180:181]      // 000000009CD4: D3B0402E 1ED0892E
	v_exp_f32_e32 v44, v44                                     // 000000009CDC: 7E58412C
	v_exp_f32_e32 v45, v45                                     // 000000009CE0: 7E5A412D
	v_exp_f32_e32 v46, v46                                     // 000000009CE4: 7E5C412E
	v_exp_f32_e32 v47, v47                                     // 000000009CE8: 7E5E412F
	v_pk_fma_f32 v[48:49], v[48:49], s[68:69], v[180:181]      // 000000009CEC: D3B04030 1ED08930
	v_pk_fma_f32 v[50:51], v[50:51], s[68:69], v[180:181]      // 000000009CF4: D3B04032 1ED08932
	v_exp_f32_e32 v48, v48                                     // 000000009CFC: 7E604130
	v_exp_f32_e32 v49, v49                                     // 000000009D00: 7E624131
	v_exp_f32_e32 v50, v50                                     // 000000009D04: 7E644132
	v_exp_f32_e32 v51, v51                                     // 000000009D08: 7E664133
	v_pk_fma_f32 v[52:53], v[52:53], s[68:69], v[180:181]      // 000000009D0C: D3B04034 1ED08934
	v_pk_fma_f32 v[54:55], v[54:55], s[68:69], v[180:181]      // 000000009D14: D3B04036 1ED08936
	v_exp_f32_e32 v52, v52                                     // 000000009D1C: 7E684134
	v_exp_f32_e32 v53, v53                                     // 000000009D20: 7E6A4135
	v_exp_f32_e32 v54, v54                                     // 000000009D24: 7E6C4136
	v_exp_f32_e32 v55, v55                                     // 000000009D28: 7E6E4137
	v_pk_fma_f32 v[56:57], v[56:57], s[68:69], v[180:181]      // 000000009D2C: D3B04038 1ED08938
	v_pk_fma_f32 v[58:59], v[58:59], s[68:69], v[180:181]      // 000000009D34: D3B0403A 1ED0893A
	v_exp_f32_e32 v56, v56                                     // 000000009D3C: 7E704138
	v_exp_f32_e32 v57, v57                                     // 000000009D40: 7E724139
	v_exp_f32_e32 v58, v58                                     // 000000009D44: 7E74413A
	v_exp_f32_e32 v59, v59                                     // 000000009D48: 7E76413B
	v_mul_f32_dpp v60, v130, v28 row_newbcast:0 row_mask:0xf bank_mask:0xf// 000000009D4C: 0A7838FA FF015082
	v_mul_f32_dpp v61, v130, v29 row_newbcast:1 row_mask:0xf bank_mask:0xf// 000000009D54: 0A7A3AFA FF015182
	v_mul_f32_dpp v62, v130, v30 row_newbcast:2 row_mask:0xf bank_mask:0xf// 000000009D5C: 0A7C3CFA FF015282
	v_mul_f32_dpp v63, v130, v31 row_newbcast:3 row_mask:0xf bank_mask:0xf// 000000009D64: 0A7E3EFA FF015382
	v_mul_f32_dpp v64, v130, v32 row_newbcast:4 row_mask:0xf bank_mask:0xf// 000000009D6C: 0A8040FA FF015482
	v_mul_f32_dpp v65, v130, v33 row_newbcast:5 row_mask:0xf bank_mask:0xf// 000000009D74: 0A8242FA FF015582
	v_mul_f32_dpp v66, v130, v34 row_newbcast:6 row_mask:0xf bank_mask:0xf// 000000009D7C: 0A8444FA FF015682
	v_mul_f32_dpp v67, v130, v35 row_newbcast:7 row_mask:0xf bank_mask:0xf// 000000009D84: 0A8646FA FF015782
	v_mul_f32_dpp v68, v130, v36 row_newbcast:8 row_mask:0xf bank_mask:0xf// 000000009D8C: 0A8848FA FF015882
	v_mul_f32_dpp v69, v130, v37 row_newbcast:9 row_mask:0xf bank_mask:0xf// 000000009D94: 0A8A4AFA FF015982
	v_mul_f32_dpp v70, v130, v38 row_newbcast:10 row_mask:0xf bank_mask:0xf// 000000009D9C: 0A8C4CFA FF015A82
	v_mul_f32_dpp v71, v130, v39 row_newbcast:11 row_mask:0xf bank_mask:0xf// 000000009DA4: 0A8E4EFA FF015B82
	v_mul_f32_dpp v72, v130, v40 row_newbcast:12 row_mask:0xf bank_mask:0xf// 000000009DAC: 0A9050FA FF015C82
	v_mul_f32_dpp v73, v130, v41 row_newbcast:13 row_mask:0xf bank_mask:0xf// 000000009DB4: 0A9252FA FF015D82
	v_mul_f32_dpp v74, v130, v42 row_newbcast:14 row_mask:0xf bank_mask:0xf// 000000009DBC: 0A9454FA FF015E82
	v_mul_f32_dpp v75, v130, v43 row_newbcast:15 row_mask:0xf bank_mask:0xf// 000000009DC4: 0A9656FA FF015F82
	v_mul_f32_dpp v76, v130, v44 row_newbcast:0 row_mask:0xf bank_mask:0xf// 000000009DCC: 0A9858FA FF015082
	v_mul_f32_dpp v77, v130, v45 row_newbcast:1 row_mask:0xf bank_mask:0xf// 000000009DD4: 0A9A5AFA FF015182
	v_mul_f32_dpp v78, v130, v46 row_newbcast:2 row_mask:0xf bank_mask:0xf// 000000009DDC: 0A9C5CFA FF015282
	v_mul_f32_dpp v79, v130, v47 row_newbcast:3 row_mask:0xf bank_mask:0xf// 000000009DE4: 0A9E5EFA FF015382
	v_mul_f32_dpp v80, v130, v48 row_newbcast:4 row_mask:0xf bank_mask:0xf// 000000009DEC: 0AA060FA FF015482
	v_mul_f32_dpp v81, v130, v49 row_newbcast:5 row_mask:0xf bank_mask:0xf// 000000009DF4: 0AA262FA FF015582
	v_mul_f32_dpp v82, v130, v50 row_newbcast:6 row_mask:0xf bank_mask:0xf// 000000009DFC: 0AA464FA FF015682
	v_mul_f32_dpp v83, v130, v51 row_newbcast:7 row_mask:0xf bank_mask:0xf// 000000009E04: 0AA666FA FF015782
	v_mul_f32_dpp v84, v130, v52 row_newbcast:8 row_mask:0xf bank_mask:0xf// 000000009E0C: 0AA868FA FF015882
	v_mul_f32_dpp v85, v130, v53 row_newbcast:9 row_mask:0xf bank_mask:0xf// 000000009E14: 0AAA6AFA FF015982
	v_mul_f32_dpp v86, v130, v54 row_newbcast:10 row_mask:0xf bank_mask:0xf// 000000009E1C: 0AAC6CFA FF015A82
	v_mul_f32_dpp v87, v130, v55 row_newbcast:11 row_mask:0xf bank_mask:0xf// 000000009E24: 0AAE6EFA FF015B82
	v_mul_f32_dpp v88, v130, v56 row_newbcast:12 row_mask:0xf bank_mask:0xf// 000000009E2C: 0AB070FA FF015C82
	v_mul_f32_dpp v89, v130, v57 row_newbcast:13 row_mask:0xf bank_mask:0xf// 000000009E34: 0AB272FA FF015D82
	v_mul_f32_dpp v90, v130, v58 row_newbcast:14 row_mask:0xf bank_mask:0xf// 000000009E3C: 0AB474FA FF015E82
	v_mul_f32_dpp v91, v130, v59 row_newbcast:15 row_mask:0xf bank_mask:0xf// 000000009E44: 0AB676FA FF015F82
	v_mov_b32_e32 v146, 0x358637bd                             // 000000009E4C: 7F2402FF 358637BD
	v_max3_f32 v146, |v60|, |v61|, v146                        // 000000009E54: D1D30392 064A7B3C
	v_max3_f32 v146, |v62|, |v63|, v146                        // 000000009E5C: D1D30392 064A7F3E
	v_max3_f32 v146, |v64|, |v65|, v146                        // 000000009E64: D1D30392 064A8340
	v_max3_f32 v146, |v66|, |v67|, v146                        // 000000009E6C: D1D30392 064A8742
	v_max3_f32 v146, |v68|, |v69|, v146                        // 000000009E74: D1D30392 064A8B44
	v_max3_f32 v146, |v70|, |v71|, v146                        // 000000009E7C: D1D30392 064A8F46
	v_max3_f32 v146, |v72|, |v73|, v146                        // 000000009E84: D1D30392 064A9348
	v_max3_f32 v146, |v74|, |v75|, v146                        // 000000009E8C: D1D30392 064A974A
	v_mov_b32_e32 v147, 0x358637bd                             // 000000009E94: 7F2602FF 358637BD
	v_max3_f32 v147, |v76|, |v77|, v147                        // 000000009E9C: D1D30393 064E9B4C
	v_max3_f32 v147, |v78|, |v79|, v147                        // 000000009EA4: D1D30393 064E9F4E
	v_max3_f32 v147, |v80|, |v81|, v147                        // 000000009EAC: D1D30393 064EA350
	v_max3_f32 v147, |v82|, |v83|, v147                        // 000000009EB4: D1D30393 064EA752
	v_max3_f32 v147, |v84|, |v85|, v147                        // 000000009EBC: D1D30393 064EAB54
	v_max3_f32 v147, |v86|, |v87|, v147                        // 000000009EC4: D1D30393 064EAF56
	v_max3_f32 v147, |v88|, |v89|, v147                        // 000000009ECC: D1D30393 064EB358
	v_max3_f32 v147, |v90|, |v91|, v147                        // 000000009ED4: D1D30393 064EB75A
	ds_write_b64 v210, v[146:147] offset:2304                  // 000000009EDC: D89A0900 000092D2
	buffer_load_dword v129, v202, s[28:31], 0 offen            // 000000009EE4: E0501000 800781CA
	v_sub_f32_e32 v140, v136, v138                             // 000000009EEC: 05191588
	v_cmp_eq_u32_e64 s[92:93], v191, v136                      // 000000009EF0: D0CA005C 000311BF
	s_nop 0                                                    // 000000009EF8: BF800000
	v_cndmask_b32_e64 v140, v140, 0, s[92:93]                  // 000000009EFC: D100008C 0171018C
	v_mov_b32_e32 v136, v138                                   // 000000009F04: 7F10038A
	v_mul_f32_e32 v140, s51, v140                              // 000000009F08: 0B191833
	v_exp_f32_e32 v140, v140                                   // 000000009F0C: 7F18418C
	v_sub_f32_e32 v142, v137, v139                             // 000000009F10: 051D1789
	v_cmp_eq_u32_e64 s[92:93], v191, v137                      // 000000009F14: D0CA005C 000313BF
	s_nop 0                                                    // 000000009F1C: BF800000
	v_cndmask_b32_e64 v142, v142, 0, s[92:93]                  // 000000009F20: D100008E 0171018E
	v_mov_b32_e32 v137, v139                                   // 000000009F28: 7F12038B
	v_mul_f32_e32 v142, s51, v142                              // 000000009F2C: 0B1D1C33
	v_exp_f32_e32 v142, v142                                   // 000000009F30: 7F1C418E
	v_mov_b32_e32 v141, v140                                   // 000000009F34: 7F1A038C
	v_mov_b32_e32 v143, v142                                   // 000000009F38: 7F1E038E
	buffer_load_dword v131, v203, s[32:35], 0 offen            // 000000009F3C: E0501000 800883CB
	s_waitcnt lgkmcnt(0)                                       // 000000009F44: BF8CC07F
	s_barrier                                                  // 000000009F48: BF8A0000
	ds_read_b64 v[148:149], v211 offset:2304                   // 000000009F4C: D8EC0900 940000D3
	ds_read_b64 v[150:151], v211 offset:2432                   // 000000009F54: D8EC0980 960000D3
	ds_read_b64 v[152:153], v211 offset:2560                   // 000000009F5C: D8EC0A00 980000D3
	ds_read_b64 v[154:155], v211 offset:2688                   // 000000009F64: D8EC0A80 9A0000D3
	ds_read_b64 v[156:157], v211 offset:2816                   // 000000009F6C: D8EC0B00 9C0000D3
	ds_read_b64 v[158:159], v211 offset:2944                   // 000000009F74: D8EC0B80 9E0000D3
	ds_read_b64 v[160:161], v211 offset:3072                   // 000000009F7C: D8EC0C00 A00000D3
	ds_read_b64 v[162:163], v211 offset:3200                   // 000000009F84: D8EC0C80 A20000D3
	ds_read_b64 v[164:165], v211 offset:3328                   // 000000009F8C: D8EC0D00 A40000D3
	ds_read_b64 v[166:167], v211 offset:3456                   // 000000009F94: D8EC0D80 A60000D3
	ds_read_b64 v[168:169], v211 offset:3584                   // 000000009F9C: D8EC0E00 A80000D3
	ds_read_b64 v[170:171], v211 offset:3712                   // 000000009FA4: D8EC0E80 AA0000D3
	ds_read_b64 v[172:173], v211 offset:3840                   // 000000009FAC: D8EC0F00 AC0000D3
	ds_read_b64 v[174:175], v211 offset:3968                   // 000000009FB4: D8EC0F80 AE0000D3
	ds_read_b64 v[176:177], v211 offset:4096                   // 000000009FBC: D8EC1000 B00000D3
	ds_read_b64 v[178:179], v211 offset:4224                   // 000000009FC4: D8EC1080 B20000D3
	v_mul_f32_e32 v144, v140, v144                             // 000000009FCC: 0B21218C
	v_add_f32_e32 v144, v28, v144                              // 000000009FD0: 0321211C
	v_add_f32_e32 v144, v29, v144                              // 000000009FD4: 0321211D
	v_add_f32_e32 v144, v30, v144                              // 000000009FD8: 0321211E
	v_add_f32_e32 v144, v31, v144                              // 000000009FDC: 0321211F
	v_add_f32_e32 v144, v32, v144                              // 000000009FE0: 03212120
	v_add_f32_e32 v144, v33, v144                              // 000000009FE4: 03212121
	v_add_f32_e32 v144, v34, v144                              // 000000009FE8: 03212122
	v_add_f32_e32 v144, v35, v144                              // 000000009FEC: 03212123
	v_add_f32_e32 v144, v36, v144                              // 000000009FF0: 03212124
	v_add_f32_e32 v144, v37, v144                              // 000000009FF4: 03212125
	v_add_f32_e32 v144, v38, v144                              // 000000009FF8: 03212126
	v_add_f32_e32 v144, v39, v144                              // 000000009FFC: 03212127
	v_add_f32_e32 v144, v40, v144                              // 00000000A000: 03212128
	v_add_f32_e32 v144, v41, v144                              // 00000000A004: 03212129
	v_add_f32_e32 v144, v42, v144                              // 00000000A008: 0321212A
	v_add_f32_e32 v144, v43, v144                              // 00000000A00C: 0321212B
	v_mul_f32_e32 v145, v142, v145                             // 00000000A010: 0B23238E
	v_add_f32_e32 v145, v44, v145                              // 00000000A014: 0323232C
	v_add_f32_e32 v145, v45, v145                              // 00000000A018: 0323232D
	v_add_f32_e32 v145, v46, v145                              // 00000000A01C: 0323232E
	v_add_f32_e32 v145, v47, v145                              // 00000000A020: 0323232F
	v_add_f32_e32 v145, v48, v145                              // 00000000A024: 03232330
	v_add_f32_e32 v145, v49, v145                              // 00000000A028: 03232331
	v_add_f32_e32 v145, v50, v145                              // 00000000A02C: 03232332
	v_add_f32_e32 v145, v51, v145                              // 00000000A030: 03232333
	v_add_f32_e32 v145, v52, v145                              // 00000000A034: 03232334
	v_add_f32_e32 v145, v53, v145                              // 00000000A038: 03232335
	v_add_f32_e32 v145, v54, v145                              // 00000000A03C: 03232336
	v_add_f32_e32 v145, v55, v145                              // 00000000A040: 03232337
	v_add_f32_e32 v145, v56, v145                              // 00000000A044: 03232338
	v_add_f32_e32 v145, v57, v145                              // 00000000A048: 03232339
	v_add_f32_e32 v145, v58, v145                              // 00000000A04C: 0323233A
	v_add_f32_e32 v145, v59, v145                              // 00000000A050: 0323233B
	s_waitcnt lgkmcnt(0)                                       // 00000000A054: BF8CC07F
	v_max3_f32 v146, v148, v150, v146                          // 00000000A058: D1D30092 064B2D94
	v_max3_f32 v147, v149, v151, v147                          // 00000000A060: D1D30093 064F2F95
	v_max3_f32 v146, v152, v154, v146                          // 00000000A068: D1D30092 064B3598
	v_max3_f32 v147, v153, v155, v147                          // 00000000A070: D1D30093 064F3799
	v_max3_f32 v146, v156, v158, v146                          // 00000000A078: D1D30092 064B3D9C
	v_max3_f32 v147, v157, v159, v147                          // 00000000A080: D1D30093 064F3F9D
	v_max3_f32 v146, v160, v162, v146                          // 00000000A088: D1D30092 064B45A0
	v_max3_f32 v147, v161, v163, v147                          // 00000000A090: D1D30093 064F47A1
	v_max3_f32 v146, v164, v166, v146                          // 00000000A098: D1D30092 064B4DA4
	v_max3_f32 v147, v165, v167, v147                          // 00000000A0A0: D1D30093 064F4FA5
	v_max3_f32 v146, v168, v170, v146                          // 00000000A0A8: D1D30092 064B55A8
	v_max3_f32 v147, v169, v171, v147                          // 00000000A0B0: D1D30093 064F57A9
	v_max3_f32 v146, v172, v174, v146                          // 00000000A0B8: D1D30092 064B5DAC
	v_max3_f32 v147, v173, v175, v147                          // 00000000A0C0: D1D30093 064F5FAD
	v_max3_f32 v146, v176, v178, v146                          // 00000000A0C8: D1D30092 064B65B0
	v_max3_f32 v147, v177, v179, v147                          // 00000000A0D0: D1D30093 064F67B1
	v_rcp_f32_e32 v146, v146                                   // 00000000A0D8: 7F244592
	v_rcp_f32_e32 v147, v147                                   // 00000000A0DC: 7F264593
	v_mul_f32_e32 v146, 0x43700000, v146                       // 00000000A0E0: 0B2524FF 43700000
	v_mul_f32_e32 v147, 0x43700000, v147                       // 00000000A0E8: 0B2726FF 43700000
	v_mul_f32_e32 v28, v146, v60                               // 00000000A0F0: 0A387992
	v_mul_f32_e32 v29, v146, v61                               // 00000000A0F4: 0A3A7B92
	v_mul_f32_e32 v30, v146, v62                               // 00000000A0F8: 0A3C7D92
	v_mul_f32_e32 v31, v146, v63                               // 00000000A0FC: 0A3E7F92
	v_mul_f32_e32 v32, v146, v64                               // 00000000A100: 0A408192
	v_mul_f32_e32 v33, v146, v65                               // 00000000A104: 0A428392
	v_mul_f32_e32 v34, v146, v66                               // 00000000A108: 0A448592
	v_mul_f32_e32 v35, v146, v67                               // 00000000A10C: 0A468792
	v_mul_f32_e32 v36, v146, v68                               // 00000000A110: 0A488992
	v_mul_f32_e32 v37, v146, v69                               // 00000000A114: 0A4A8B92
	v_mul_f32_e32 v38, v146, v70                               // 00000000A118: 0A4C8D92
	v_mul_f32_e32 v39, v146, v71                               // 00000000A11C: 0A4E8F92
	v_mul_f32_e32 v40, v146, v72                               // 00000000A120: 0A509192
	v_mul_f32_e32 v41, v146, v73                               // 00000000A124: 0A529392
	v_mul_f32_e32 v42, v146, v74                               // 00000000A128: 0A549592
	v_mul_f32_e32 v43, v146, v75                               // 00000000A12C: 0A569792
	v_mul_f32_e32 v44, v147, v76                               // 00000000A130: 0A589993
	v_mul_f32_e32 v45, v147, v77                               // 00000000A134: 0A5A9B93
	v_mul_f32_e32 v46, v147, v78                               // 00000000A138: 0A5C9D93
	v_mul_f32_e32 v47, v147, v79                               // 00000000A13C: 0A5E9F93
	v_mul_f32_e32 v48, v147, v80                               // 00000000A140: 0A60A193
	v_mul_f32_e32 v49, v147, v81                               // 00000000A144: 0A62A393
	v_mul_f32_e32 v50, v147, v82                               // 00000000A148: 0A64A593
	v_mul_f32_e32 v51, v147, v83                               // 00000000A14C: 0A66A793
	v_mul_f32_e32 v52, v147, v84                               // 00000000A150: 0A68A993
	v_mul_f32_e32 v53, v147, v85                               // 00000000A154: 0A6AAB93
	v_mul_f32_e32 v54, v147, v86                               // 00000000A158: 0A6CAD93
	v_mul_f32_e32 v55, v147, v87                               // 00000000A15C: 0A6EAF93
	v_mul_f32_e32 v56, v147, v88                               // 00000000A160: 0A70B193
	v_mul_f32_e32 v57, v147, v89                               // 00000000A164: 0A72B393
	v_mul_f32_e32 v58, v147, v90                               // 00000000A168: 0A74B593
	v_mul_f32_e32 v59, v147, v91                               // 00000000A16C: 0A76B793
	v_cvt_pk_fp8_f32 v28, v28, v29                             // 00000000A170: D2A2001C 00023B1C
	v_cvt_pk_fp8_f32 v28, v30, v31 op_sel:[0,0,1]              // 00000000A178: D2A2401C 00023F1E
	v_cvt_pk_fp8_f32 v29, v32, v33                             // 00000000A180: D2A2001D 00024320
	v_cvt_pk_fp8_f32 v29, v34, v35 op_sel:[0,0,1]              // 00000000A188: D2A2401D 00024722
	v_cvt_pk_fp8_f32 v30, v36, v37                             // 00000000A190: D2A2001E 00024B24
	v_cvt_pk_fp8_f32 v30, v38, v39 op_sel:[0,0,1]              // 00000000A198: D2A2401E 00024F26
	v_cvt_pk_fp8_f32 v31, v40, v41                             // 00000000A1A0: D2A2001F 00025328
	v_cvt_pk_fp8_f32 v31, v42, v43 op_sel:[0,0,1]              // 00000000A1A8: D2A2401F 0002572A
	v_cvt_pk_fp8_f32 v32, v44, v45                             // 00000000A1B0: D2A20020 00025B2C
	v_cvt_pk_fp8_f32 v32, v46, v47 op_sel:[0,0,1]              // 00000000A1B8: D2A24020 00025F2E
	v_cvt_pk_fp8_f32 v33, v48, v49                             // 00000000A1C0: D2A20021 00026330
	v_cvt_pk_fp8_f32 v33, v50, v51 op_sel:[0,0,1]              // 00000000A1C8: D2A24021 00026732
	v_cvt_pk_fp8_f32 v34, v52, v53                             // 00000000A1D0: D2A20022 00026B34
	v_cvt_pk_fp8_f32 v34, v54, v55 op_sel:[0,0,1]              // 00000000A1D8: D2A24022 00026F36
	v_cvt_pk_fp8_f32 v35, v56, v57                             // 00000000A1E0: D2A20023 00027338
	v_cvt_pk_fp8_f32 v35, v58, v59 op_sel:[0,0,1]              // 00000000A1E8: D2A24023 0002773A
	ds_write_b32 v212, v28 offset:4608                         // 00000000A1F0: D81A1200 00001CD4
	ds_write_b32 v212, v29 offset:5632                         // 00000000A1F8: D81A1600 00001DD4
	ds_write_b32 v212, v30 offset:6656                         // 00000000A200: D81A1A00 00001ED4
	ds_write_b32 v212, v31 offset:7680                         // 00000000A208: D81A1E00 00001FD4
	ds_write_b32 v212, v32 offset:8704                         // 00000000A210: D81A2200 000020D4
	ds_write_b32 v212, v33 offset:9728                         // 00000000A218: D81A2600 000021D4
	ds_write_b32 v212, v34 offset:10752                        // 00000000A220: D81A2A00 000022D4
	ds_write_b32 v212, v35 offset:11776                        // 00000000A228: D81A2E00 000023D4
	v_rcp_f32_e32 v132, v146                                   // 00000000A230: 7F084592
	v_rcp_f32_e32 v134, v147                                   // 00000000A234: 7F0C4593
	v_mov_b32_e32 v133, v132                                   // 00000000A238: 7F0A0384
	v_mov_b32_e32 v135, v134                                   // 00000000A23C: 7F0E0386
	v_pk_add_f32 v[108:109], v[108:109], v[92:93]              // 00000000A240: D3B2406C 1802B96C
	v_pk_add_f32 v[110:111], v[110:111], v[94:95]              // 00000000A248: D3B2406E 1802BD6E
	v_pk_add_f32 v[112:113], v[112:113], v[96:97]              // 00000000A250: D3B24070 1802C170
	v_pk_add_f32 v[114:115], v[114:115], v[98:99]              // 00000000A258: D3B24072 1802C572
	v_pk_add_f32 v[116:117], v[116:117], v[100:101]            // 00000000A260: D3B24074 1802C974
	v_pk_add_f32 v[118:119], v[118:119], v[102:103]            // 00000000A268: D3B24076 1802CD76
	v_pk_add_f32 v[120:121], v[120:121], v[104:105]            // 00000000A270: D3B24078 1802D178
	v_pk_add_f32 v[122:123], v[122:123], v[106:107]            // 00000000A278: D3B2407A 1802D57A
	s_waitcnt lgkmcnt(0)                                       // 00000000A280: BF8CC07F
	s_barrier                                                  // 00000000A284: BF8A0000
	ds_read_b128 v[28:31], v213 offset:4608                    // 00000000A288: D9FE1200 1C0000D5
	ds_read_b128 v[32:35], v213 offset:5632                    // 00000000A290: D9FE1600 200000D5
	ds_read_b128 v[36:39], v213 offset:6656                    // 00000000A298: D9FE1A00 240000D5
	ds_read_b128 v[40:43], v213 offset:7680                    // 00000000A2A0: D9FE1E00 280000D5
	ds_read_b128 v[44:47], v213 offset:8704                    // 00000000A2A8: D9FE2200 2C0000D5
	ds_read_b128 v[48:51], v213 offset:9728                    // 00000000A2B0: D9FE2600 300000D5
	ds_read_b128 v[52:55], v213 offset:10752                   // 00000000A2B8: D9FE2A00 340000D5
	ds_read_b128 v[56:59], v213 offset:11776                   // 00000000A2C0: D9FE2E00 380000D5
	s_waitcnt vmcnt(10)                                        // 00000000A2C8: BF8C0F7A
	s_waitcnt lgkmcnt(7)                                       // 00000000A2CC: BF8CC77F
	v_mfma_f32_16x16x32_fp8_fp8 v[92:95], a[64:65], v[28:29], 0// 00000000A2D0: D3F3005C 0A023940
	s_addk_i32 s62, 0x1                                        // 00000000A2D8: B73E0001
	v_mfma_f32_16x16x32_fp8_fp8 v[96:99], a[80:81], v[28:29], 0// 00000000A2DC: D3F30060 0A023950
	s_cmp_lt_u32 s62, s52                                      // 00000000A2E4: BF0A343E
	s_cselect_b32 s63, 4, 0                                    // 00000000A2E8: 853F8084
	v_mfma_f32_16x16x32_fp8_fp8 v[92:95], a[66:67], v[30:31], v[92:95]// 00000000A2EC: D3F3005C 0D723D42
	buffer_load_dwordx4 a[96:99], v198, s[16:19], 0 offen      // 00000000A2F4: E05C1000 808460C6
	v_mfma_f32_16x16x32_fp8_fp8 v[96:99], a[82:83], v[30:31], v[96:99]// 00000000A2FC: D3F30060 0D823D52
	s_add_u32 s20, s20, s63                                    // 00000000A304: 80143F14
	s_addc_u32 s21, s21, 0                                     // 00000000A308: 82158015
	s_waitcnt lgkmcnt(6)                                       // 00000000A30C: BF8CC67F
	v_mfma_f32_16x16x32_fp8_fp8 v[92:95], a[68:69], v[32:33], v[92:95]// 00000000A310: D3F3005C 0D724144
	v_mfma_f32_16x16x32_fp8_fp8 v[96:99], a[84:85], v[32:33], v[96:99]// 00000000A318: D3F30060 0D824154
	v_mfma_f32_16x16x32_fp8_fp8 v[92:95], a[70:71], v[34:35], v[92:95]// 00000000A320: D3F3005C 0D724546
	buffer_load_dwordx4 a[100:103], v199, s[16:19], 0 offen    // 00000000A328: E05C1000 808464C7
	v_mfma_f32_16x16x32_fp8_fp8 v[96:99], a[86:87], v[34:35], v[96:99]// 00000000A330: D3F30060 0D824556
	s_waitcnt lgkmcnt(5)                                       // 00000000A338: BF8CC57F
	v_mfma_f32_16x16x32_fp8_fp8 v[92:95], a[72:73], v[36:37], v[92:95]// 00000000A33C: D3F3005C 0D724948
	v_mfma_f32_16x16x32_fp8_fp8 v[96:99], a[88:89], v[36:37], v[96:99]// 00000000A344: D3F30060 0D824958
	v_mfma_f32_16x16x32_fp8_fp8 v[92:95], a[74:75], v[38:39], v[92:95]// 00000000A34C: D3F3005C 0D724D4A
	buffer_load_dwordx4 a[104:107], v200, s[16:19], 0 offen    // 00000000A354: E05C1000 808468C8
	v_mfma_f32_16x16x32_fp8_fp8 v[96:99], a[90:91], v[38:39], v[96:99]// 00000000A35C: D3F30060 0D824D5A
	s_waitcnt lgkmcnt(4)                                       // 00000000A364: BF8CC47F
	v_mfma_f32_16x16x32_fp8_fp8 v[92:95], a[76:77], v[40:41], v[92:95]// 00000000A368: D3F3005C 0D72514C
	v_mfma_f32_16x16x32_fp8_fp8 v[96:99], a[92:93], v[40:41], v[96:99]// 00000000A370: D3F30060 0D82515C
	v_mfma_f32_16x16x32_fp8_fp8 v[92:95], a[78:79], v[42:43], v[92:95]// 00000000A378: D3F3005C 0D72554E
	buffer_load_dwordx4 a[108:111], v201, s[16:19], 0 offen    // 00000000A380: E05C1000 80846CC9
	v_mfma_f32_16x16x32_fp8_fp8 v[96:99], a[94:95], v[42:43], v[96:99]// 00000000A388: D3F30060 0D82555E
	s_waitcnt lgkmcnt(3)                                       // 00000000A390: BF8CC37F
	v_mfma_f32_16x16x32_fp8_fp8 v[100:103], a[64:65], v[44:45], 0// 00000000A394: D3F30064 0A025940
	v_mfma_f32_16x16x32_fp8_fp8 v[104:107], a[80:81], v[44:45], 0// 00000000A39C: D3F30068 0A025950
	v_mfma_f32_16x16x32_fp8_fp8 v[100:103], a[66:67], v[46:47], v[100:103]// 00000000A3A4: D3F30064 0D925D42
	buffer_load_dwordx4 a[112:115], v198, s[16:19], 0 offen offset:1024// 00000000A3AC: E05C1400 808470C6
	v_mfma_f32_16x16x32_fp8_fp8 v[104:107], a[82:83], v[46:47], v[104:107]// 00000000A3B4: D3F30068 0DA25D52
	s_waitcnt lgkmcnt(2)                                       // 00000000A3BC: BF8CC27F
	v_mfma_f32_16x16x32_fp8_fp8 v[100:103], a[68:69], v[48:49], v[100:103]// 00000000A3C0: D3F30064 0D926144
	v_mfma_f32_16x16x32_fp8_fp8 v[104:107], a[84:85], v[48:49], v[104:107]// 00000000A3C8: D3F30068 0DA26154
	v_mfma_f32_16x16x32_fp8_fp8 v[100:103], a[70:71], v[50:51], v[100:103]// 00000000A3D0: D3F30064 0D926546
	buffer_load_dwordx4 a[116:119], v199, s[16:19], 0 offen offset:1024// 00000000A3D8: E05C1400 808474C7
	v_mfma_f32_16x16x32_fp8_fp8 v[104:107], a[86:87], v[50:51], v[104:107]// 00000000A3E0: D3F30068 0DA26556
	s_waitcnt lgkmcnt(1)                                       // 00000000A3E8: BF8CC17F
	v_mfma_f32_16x16x32_fp8_fp8 v[100:103], a[72:73], v[52:53], v[100:103]// 00000000A3EC: D3F30064 0D926948
	v_mfma_f32_16x16x32_fp8_fp8 v[104:107], a[88:89], v[52:53], v[104:107]// 00000000A3F4: D3F30068 0DA26958
	v_mfma_f32_16x16x32_fp8_fp8 v[100:103], a[74:75], v[54:55], v[100:103]// 00000000A3FC: D3F30064 0D926D4A
	buffer_load_dwordx4 a[120:123], v200, s[16:19], 0 offen offset:1024// 00000000A404: E05C1400 808478C8
	v_mfma_f32_16x16x32_fp8_fp8 v[104:107], a[90:91], v[54:55], v[104:107]// 00000000A40C: D3F30068 0DA26D5A
	s_waitcnt lgkmcnt(0)                                       // 00000000A414: BF8CC07F
	v_mfma_f32_16x16x32_fp8_fp8 v[100:103], a[76:77], v[56:57], v[100:103]// 00000000A418: D3F30064 0D92714C
	v_mfma_f32_16x16x32_fp8_fp8 v[104:107], a[92:93], v[56:57], v[104:107]// 00000000A420: D3F30068 0DA2715C
	v_mfma_f32_16x16x32_fp8_fp8 v[100:103], a[78:79], v[58:59], v[100:103]// 00000000A428: D3F30064 0D92754E
	buffer_load_dwordx4 a[124:127], v201, s[16:19], 0 offen offset:1024// 00000000A430: E05C1400 80847CC9
	v_mfma_f32_16x16x32_fp8_fp8 v[104:107], a[94:95], v[58:59], v[104:107]// 00000000A438: D3F30068 0DA2755E
	s_load_dword s61, s[20:21], 0x0                            // 00000000A440: C0020F4A 00000000
	s_addk_i32 s49, 0x100                                      // 00000000A448: B7310100
	s_branch label_3124                                        // 00000000A44C: BF821050

000000000000a450 <label_20D4>:
	s_cmp_lt_i32 s49, s60                                      // 00000000A450: BF043C31
	s_cbranch_scc0 label_3124                                  // 00000000A454: BF84104E
	s_waitcnt vmcnt(10)                                        // 00000000A458: BF8C0F7A
	v_mfma_f32_16x16x32_fp8_fp8 v[28:31], a[32:33], v[12:13], 0// 00000000A45C: D3F3001C 0A021920
	s_add_u32 s12, s84, s64                                    // 00000000A464: 800C4054
	s_addc_u32 s13, s85, 0                                     // 00000000A468: 820D8055
	v_mfma_f32_16x16x32_fp8_fp8 v[28:31], a[34:35], v[14:15], v[28:31]// 00000000A46C: D3F3001C 0C721D22
	s_add_u32 s16, s86, s65                                    // 00000000A474: 80104156
	s_addc_u32 s17, s87, 0                                     // 00000000A478: 82118057
	v_mfma_f32_16x16x32_fp8_fp8 v[28:31], a[36:37], v[16:17], v[28:31]// 00000000A47C: D3F3001C 0C722124
	buffer_load_dwordx4 a[0:3], v196, s[12:15], 0 offen        // 00000000A484: E05C1000 808300C4
	v_mfma_f32_16x16x32_fp8_fp8 v[28:31], a[38:39], v[18:19], v[28:31]// 00000000A48C: D3F3001C 0C722526
	s_add_u32 s28, s88, s66                                    // 00000000A494: 801C4258
	s_addc_u32 s29, s89, 0                                     // 00000000A498: 821D8059
	v_mfma_f32_16x16x32_fp8_fp8 v[32:35], a[40:41], v[12:13], 0// 00000000A49C: D3F30020 0A021928
	s_add_u32 s32, s90, s66                                    // 00000000A4A4: 8020425A
	s_addc_u32 s33, s91, 0                                     // 00000000A4A8: 8221805B
	v_mfma_f32_16x16x32_fp8_fp8 v[32:35], a[42:43], v[14:15], v[32:35]// 00000000A4AC: D3F30020 0C821D2A
	s_add_u32 s64, s64, 0x1000                                 // 00000000A4B4: 8040FF40 00001000
	s_add_u32 s65, s65, 0x8000                                 // 00000000A4BC: 8041FF41 00008000
	v_mfma_f32_16x16x32_fp8_fp8 v[32:35], a[44:45], v[16:17], v[32:35]// 00000000A4C4: D3F30020 0C82212C
	buffer_load_dwordx4 a[4:7], v197, s[12:15], 0 offen        // 00000000A4CC: E05C1000 808304C5
	v_mfma_f32_16x16x32_fp8_fp8 v[32:35], a[46:47], v[18:19], v[32:35]// 00000000A4D4: D3F30020 0C82252E
	s_add_u32 s66, s66, 0x400                                  // 00000000A4DC: 8042FF42 00000400
	v_mfma_f32_16x16x32_fp8_fp8 v[36:39], a[48:49], v[12:13], 0// 00000000A4E4: D3F30024 0A021930
	v_mfma_f32_16x16x32_fp8_fp8 v[36:39], a[50:51], v[14:15], v[36:39]// 00000000A4EC: D3F30024 0C921D32
	v_mfma_f32_16x16x32_fp8_fp8 v[36:39], a[52:53], v[16:17], v[36:39]// 00000000A4F4: D3F30024 0C922134
	buffer_load_dwordx4 a[8:11], v196, s[12:15], 0 offen offset:1024// 00000000A4FC: E05C1400 808308C4
	v_mfma_f32_16x16x32_fp8_fp8 v[36:39], a[54:55], v[18:19], v[36:39]// 00000000A504: D3F30024 0C922536
	v_mfma_f32_16x16x32_fp8_fp8 v[40:43], a[56:57], v[12:13], 0// 00000000A50C: D3F30028 0A021938
	v_mfma_f32_16x16x32_fp8_fp8 v[40:43], a[58:59], v[14:15], v[40:43]// 00000000A514: D3F30028 0CA21D3A
	v_mfma_f32_16x16x32_fp8_fp8 v[40:43], a[60:61], v[16:17], v[40:43]// 00000000A51C: D3F30028 0CA2213C
	buffer_load_dwordx4 a[12:15], v197, s[12:15], 0 offen offset:1024// 00000000A524: E05C1400 80830CC5
	v_mfma_f32_16x16x32_fp8_fp8 v[40:43], a[62:63], v[18:19], v[40:43]// 00000000A52C: D3F30028 0CA2253E
	v_mfma_f32_16x16x32_fp8_fp8 v[44:47], a[32:33], v[20:21], 0// 00000000A534: D3F3002C 0A022920
	v_mfma_f32_16x16x32_fp8_fp8 v[44:47], a[34:35], v[22:23], v[44:47]// 00000000A53C: D3F3002C 0CB22D22
	v_mfma_f32_16x16x32_fp8_fp8 v[44:47], a[36:37], v[24:25], v[44:47]// 00000000A544: D3F3002C 0CB23124
	buffer_load_dwordx4 a[16:19], v196, s[12:15], 0 offen offset:2048// 00000000A54C: E05C1800 808310C4
	v_mfma_f32_16x16x32_fp8_fp8 v[44:47], a[38:39], v[26:27], v[44:47]// 00000000A554: D3F3002C 0CB23526
	v_mfma_f32_16x16x32_fp8_fp8 v[48:51], a[40:41], v[20:21], 0// 00000000A55C: D3F30030 0A022928
	v_mfma_f32_16x16x32_fp8_fp8 v[48:51], a[42:43], v[22:23], v[48:51]// 00000000A564: D3F30030 0CC22D2A
	v_mfma_f32_16x16x32_fp8_fp8 v[48:51], a[44:45], v[24:25], v[48:51]// 00000000A56C: D3F30030 0CC2312C
	buffer_load_dwordx4 a[20:23], v197, s[12:15], 0 offen offset:2048// 00000000A574: E05C1800 808314C5
	v_mfma_f32_16x16x32_fp8_fp8 v[48:51], a[46:47], v[26:27], v[48:51]// 00000000A57C: D3F30030 0CC2352E
	v_mfma_f32_16x16x32_fp8_fp8 v[52:55], a[48:49], v[20:21], 0// 00000000A584: D3F30034 0A022930
	v_mfma_f32_16x16x32_fp8_fp8 v[52:55], a[50:51], v[22:23], v[52:55]// 00000000A58C: D3F30034 0CD22D32
	v_mfma_f32_16x16x32_fp8_fp8 v[52:55], a[52:53], v[24:25], v[52:55]// 00000000A594: D3F30034 0CD23134
	buffer_load_dwordx4 a[24:27], v196, s[12:15], 0 offen offset:3072// 00000000A59C: E05C1C00 808318C4
	v_mfma_f32_16x16x32_fp8_fp8 v[52:55], a[54:55], v[26:27], v[52:55]// 00000000A5A4: D3F30034 0CD23536
	v_mfma_f32_16x16x32_fp8_fp8 v[56:59], a[56:57], v[20:21], 0// 00000000A5AC: D3F30038 0A022938
	v_mfma_f32_16x16x32_fp8_fp8 v[56:59], a[58:59], v[22:23], v[56:59]// 00000000A5B4: D3F30038 0CE22D3A
	v_mfma_f32_16x16x32_fp8_fp8 v[56:59], a[60:61], v[24:25], v[56:59]// 00000000A5BC: D3F30038 0CE2313C
	buffer_load_dwordx4 a[28:31], v197, s[12:15], 0 offen offset:3072// 00000000A5C4: E05C1C00 80831CC5
	v_mfma_f32_16x16x32_fp8_fp8 v[56:59], a[62:63], v[26:27], v[56:59]// 00000000A5CC: D3F30038 0CE2353E
	s_waitcnt vmcnt(16)                                        // 00000000A5D4: BF8C4F70
	v_pk_mul_f32 v[28:29], v[124:125], v[28:29]                // 00000000A5D8: D3B1401C 1802397C
	v_pk_mul_f32 v[30:31], v[124:125], v[30:31]                // 00000000A5E0: D3B1401E 18023D7C
	v_mul_f32_dpp v28, v129, v28 row_newbcast:0 row_mask:0xf bank_mask:0xf// 00000000A5E8: 0A3838FA FF015081
	v_mul_f32_dpp v29, v129, v29 row_newbcast:1 row_mask:0xf bank_mask:0xf// 00000000A5F0: 0A3A3AFA FF015181
	v_mul_f32_dpp v30, v129, v30 row_newbcast:2 row_mask:0xf bank_mask:0xf// 00000000A5F8: 0A3C3CFA FF015281
	v_mul_f32_dpp v31, v129, v31 row_newbcast:3 row_mask:0xf bank_mask:0xf// 00000000A600: 0A3E3EFA FF015381
	v_pk_mul_f32 v[32:33], v[124:125], v[32:33]                // 00000000A608: D3B14020 1802417C
	v_pk_mul_f32 v[34:35], v[124:125], v[34:35]                // 00000000A610: D3B14022 1802457C
	v_mul_f32_dpp v32, v129, v32 row_newbcast:4 row_mask:0xf bank_mask:0xf// 00000000A618: 0A4040FA FF015481
	v_mul_f32_dpp v33, v129, v33 row_newbcast:5 row_mask:0xf bank_mask:0xf// 00000000A620: 0A4242FA FF015581
	v_mul_f32_dpp v34, v129, v34 row_newbcast:6 row_mask:0xf bank_mask:0xf// 00000000A628: 0A4444FA FF015681
	v_mul_f32_dpp v35, v129, v35 row_newbcast:7 row_mask:0xf bank_mask:0xf// 00000000A630: 0A4646FA FF015781
	v_pk_mul_f32 v[36:37], v[124:125], v[36:37]                // 00000000A638: D3B14024 1802497C
	v_pk_mul_f32 v[38:39], v[124:125], v[38:39]                // 00000000A640: D3B14026 18024D7C
	v_mul_f32_dpp v36, v129, v36 row_newbcast:8 row_mask:0xf bank_mask:0xf// 00000000A648: 0A4848FA FF015881
	v_mul_f32_dpp v37, v129, v37 row_newbcast:9 row_mask:0xf bank_mask:0xf// 00000000A650: 0A4A4AFA FF015981
	v_mul_f32_dpp v38, v129, v38 row_newbcast:10 row_mask:0xf bank_mask:0xf// 00000000A658: 0A4C4CFA FF015A81
	v_mul_f32_dpp v39, v129, v39 row_newbcast:11 row_mask:0xf bank_mask:0xf// 00000000A660: 0A4E4EFA FF015B81
	v_pk_mul_f32 v[40:41], v[124:125], v[40:41]                // 00000000A668: D3B14028 1802517C
	v_pk_mul_f32 v[42:43], v[124:125], v[42:43]                // 00000000A670: D3B1402A 1802557C
	v_mul_f32_dpp v40, v129, v40 row_newbcast:12 row_mask:0xf bank_mask:0xf// 00000000A678: 0A5050FA FF015C81
	v_mul_f32_dpp v41, v129, v41 row_newbcast:13 row_mask:0xf bank_mask:0xf// 00000000A680: 0A5252FA FF015D81
	v_mul_f32_dpp v42, v129, v42 row_newbcast:14 row_mask:0xf bank_mask:0xf// 00000000A688: 0A5454FA FF015E81
	v_mul_f32_dpp v43, v129, v43 row_newbcast:15 row_mask:0xf bank_mask:0xf// 00000000A690: 0A5656FA FF015F81
	v_pk_mul_f32 v[44:45], v[126:127], v[44:45]                // 00000000A698: D3B1402C 1802597E
	v_pk_mul_f32 v[46:47], v[126:127], v[46:47]                // 00000000A6A0: D3B1402E 18025D7E
	v_mul_f32_dpp v44, v129, v44 row_newbcast:0 row_mask:0xf bank_mask:0xf// 00000000A6A8: 0A5858FA FF015081
	v_mul_f32_dpp v45, v129, v45 row_newbcast:1 row_mask:0xf bank_mask:0xf// 00000000A6B0: 0A5A5AFA FF015181
	v_mul_f32_dpp v46, v129, v46 row_newbcast:2 row_mask:0xf bank_mask:0xf// 00000000A6B8: 0A5C5CFA FF015281
	v_mul_f32_dpp v47, v129, v47 row_newbcast:3 row_mask:0xf bank_mask:0xf// 00000000A6C0: 0A5E5EFA FF015381
	v_pk_mul_f32 v[48:49], v[126:127], v[48:49]                // 00000000A6C8: D3B14030 1802617E
	v_pk_mul_f32 v[50:51], v[126:127], v[50:51]                // 00000000A6D0: D3B14032 1802657E
	v_mul_f32_dpp v48, v129, v48 row_newbcast:4 row_mask:0xf bank_mask:0xf// 00000000A6D8: 0A6060FA FF015481
	v_mul_f32_dpp v49, v129, v49 row_newbcast:5 row_mask:0xf bank_mask:0xf// 00000000A6E0: 0A6262FA FF015581
	v_mul_f32_dpp v50, v129, v50 row_newbcast:6 row_mask:0xf bank_mask:0xf// 00000000A6E8: 0A6464FA FF015681
	v_mul_f32_dpp v51, v129, v51 row_newbcast:7 row_mask:0xf bank_mask:0xf// 00000000A6F0: 0A6666FA FF015781
	v_pk_mul_f32 v[52:53], v[126:127], v[52:53]                // 00000000A6F8: D3B14034 1802697E
	v_pk_mul_f32 v[54:55], v[126:127], v[54:55]                // 00000000A700: D3B14036 18026D7E
	v_mul_f32_dpp v52, v129, v52 row_newbcast:8 row_mask:0xf bank_mask:0xf// 00000000A708: 0A6868FA FF015881
	v_mul_f32_dpp v53, v129, v53 row_newbcast:9 row_mask:0xf bank_mask:0xf// 00000000A710: 0A6A6AFA FF015981
	v_mul_f32_dpp v54, v129, v54 row_newbcast:10 row_mask:0xf bank_mask:0xf// 00000000A718: 0A6C6CFA FF015A81
	v_mul_f32_dpp v55, v129, v55 row_newbcast:11 row_mask:0xf bank_mask:0xf// 00000000A720: 0A6E6EFA FF015B81
	v_pk_mul_f32 v[56:57], v[126:127], v[56:57]                // 00000000A728: D3B14038 1802717E
	v_pk_mul_f32 v[58:59], v[126:127], v[58:59]                // 00000000A730: D3B1403A 1802757E
	v_mul_f32_dpp v56, v129, v56 row_newbcast:12 row_mask:0xf bank_mask:0xf// 00000000A738: 0A7070FA FF015C81
	v_mul_f32_dpp v57, v129, v57 row_newbcast:13 row_mask:0xf bank_mask:0xf// 00000000A740: 0A7272FA FF015D81
	v_mul_f32_dpp v58, v129, v58 row_newbcast:14 row_mask:0xf bank_mask:0xf// 00000000A748: 0A7474FA FF015E81
	v_mul_f32_dpp v59, v129, v59 row_newbcast:15 row_mask:0xf bank_mask:0xf// 00000000A750: 0A7676FA FF015F81
	v_add_u32_e32 v180, s49, v190                              // 00000000A758: 69697C31
	v_add_u32_e32 v181, 0, v180                                // 00000000A75C: 696B6880
	v_cmp_lt_u32_e64 s[92:93], v181, v188                      // 00000000A760: D0C9005C 000379B5
	s_nop 0                                                    // 00000000A768: BF800000
	v_cndmask_b32_e64 v28, v191, v28, s[92:93]                 // 00000000A76C: D100001C 017239BF
	v_add_u32_e32 v181, 1, v180                                // 00000000A774: 696B6881
	v_cmp_lt_u32_e64 s[92:93], v181, v188                      // 00000000A778: D0C9005C 000379B5
	s_nop 0                                                    // 00000000A780: BF800000
	v_cndmask_b32_e64 v29, v191, v29, s[92:93]                 // 00000000A784: D100001D 01723BBF
	v_add_u32_e32 v181, 2, v180                                // 00000000A78C: 696B6882
	v_cmp_lt_u32_e64 s[92:93], v181, v188                      // 00000000A790: D0C9005C 000379B5
	s_nop 0                                                    // 00000000A798: BF800000
	v_cndmask_b32_e64 v30, v191, v30, s[92:93]                 // 00000000A79C: D100001E 01723DBF
	v_add_u32_e32 v181, 3, v180                                // 00000000A7A4: 696B6883
	v_cmp_lt_u32_e64 s[92:93], v181, v188                      // 00000000A7A8: D0C9005C 000379B5
	s_nop 0                                                    // 00000000A7B0: BF800000
	v_cndmask_b32_e64 v31, v191, v31, s[92:93]                 // 00000000A7B4: D100001F 01723FBF
	v_add_u32_e32 v181, 64, v180                               // 00000000A7BC: 696B68C0
	v_cmp_lt_u32_e64 s[92:93], v181, v188                      // 00000000A7C0: D0C9005C 000379B5
	s_nop 0                                                    // 00000000A7C8: BF800000
	v_cndmask_b32_e64 v32, v191, v32, s[92:93]                 // 00000000A7CC: D1000020 017241BF
	v_add_u32_e32 v181, 0x41, v180                             // 00000000A7D4: 696B68FF 00000041
	v_cmp_lt_u32_e64 s[92:93], v181, v188                      // 00000000A7DC: D0C9005C 000379B5
	s_nop 0                                                    // 00000000A7E4: BF800000
	v_cndmask_b32_e64 v33, v191, v33, s[92:93]                 // 00000000A7E8: D1000021 017243BF
	v_add_u32_e32 v181, 0x42, v180                             // 00000000A7F0: 696B68FF 00000042
	v_cmp_lt_u32_e64 s[92:93], v181, v188                      // 00000000A7F8: D0C9005C 000379B5
	s_nop 0                                                    // 00000000A800: BF800000
	v_cndmask_b32_e64 v34, v191, v34, s[92:93]                 // 00000000A804: D1000022 017245BF
	v_add_u32_e32 v181, 0x43, v180                             // 00000000A80C: 696B68FF 00000043
	v_cmp_lt_u32_e64 s[92:93], v181, v188                      // 00000000A814: D0C9005C 000379B5
	s_nop 0                                                    // 00000000A81C: BF800000
	v_cndmask_b32_e64 v35, v191, v35, s[92:93]                 // 00000000A820: D1000023 017247BF
	v_add_u32_e32 v181, 0x80, v180                             // 00000000A828: 696B68FF 00000080
	v_cmp_lt_u32_e64 s[92:93], v181, v188                      // 00000000A830: D0C9005C 000379B5
	s_nop 0                                                    // 00000000A838: BF800000
	v_cndmask_b32_e64 v36, v191, v36, s[92:93]                 // 00000000A83C: D1000024 017249BF
	v_add_u32_e32 v181, 0x81, v180                             // 00000000A844: 696B68FF 00000081
	v_cmp_lt_u32_e64 s[92:93], v181, v188                      // 00000000A84C: D0C9005C 000379B5
	s_nop 0                                                    // 00000000A854: BF800000
	v_cndmask_b32_e64 v37, v191, v37, s[92:93]                 // 00000000A858: D1000025 01724BBF
	v_add_u32_e32 v181, 0x82, v180                             // 00000000A860: 696B68FF 00000082
	v_cmp_lt_u32_e64 s[92:93], v181, v188                      // 00000000A868: D0C9005C 000379B5
	s_nop 0                                                    // 00000000A870: BF800000
	v_cndmask_b32_e64 v38, v191, v38, s[92:93]                 // 00000000A874: D1000026 01724DBF
	v_add_u32_e32 v181, 0x83, v180                             // 00000000A87C: 696B68FF 00000083
	v_cmp_lt_u32_e64 s[92:93], v181, v188                      // 00000000A884: D0C9005C 000379B5
	s_nop 0                                                    // 00000000A88C: BF800000
	v_cndmask_b32_e64 v39, v191, v39, s[92:93]                 // 00000000A890: D1000027 01724FBF
	v_add_u32_e32 v181, 0xc0, v180                             // 00000000A898: 696B68FF 000000C0
	v_cmp_lt_u32_e64 s[92:93], v181, v188                      // 00000000A8A0: D0C9005C 000379B5
	s_nop 0                                                    // 00000000A8A8: BF800000
	v_cndmask_b32_e64 v40, v191, v40, s[92:93]                 // 00000000A8AC: D1000028 017251BF
	v_add_u32_e32 v181, 0xc1, v180                             // 00000000A8B4: 696B68FF 000000C1
	v_cmp_lt_u32_e64 s[92:93], v181, v188                      // 00000000A8BC: D0C9005C 000379B5
	s_nop 0                                                    // 00000000A8C4: BF800000
	v_cndmask_b32_e64 v41, v191, v41, s[92:93]                 // 00000000A8C8: D1000029 017253BF
	v_add_u32_e32 v181, 0xc2, v180                             // 00000000A8D0: 696B68FF 000000C2
	v_cmp_lt_u32_e64 s[92:93], v181, v188                      // 00000000A8D8: D0C9005C 000379B5
	s_nop 0                                                    // 00000000A8E0: BF800000
	v_cndmask_b32_e64 v42, v191, v42, s[92:93]                 // 00000000A8E4: D100002A 017255BF
	v_add_u32_e32 v181, 0xc3, v180                             // 00000000A8EC: 696B68FF 000000C3
	v_cmp_lt_u32_e64 s[92:93], v181, v188                      // 00000000A8F4: D0C9005C 000379B5
	s_nop 0                                                    // 00000000A8FC: BF800000
	v_cndmask_b32_e64 v43, v191, v43, s[92:93]                 // 00000000A900: D100002B 017257BF
	v_add_u32_e32 v181, 0, v180                                // 00000000A908: 696B6880
	v_cmp_lt_u32_e64 s[92:93], v181, v189                      // 00000000A90C: D0C9005C 00037BB5
	s_nop 0                                                    // 00000000A914: BF800000
	v_cndmask_b32_e64 v44, v191, v44, s[92:93]                 // 00000000A918: D100002C 017259BF
	v_add_u32_e32 v181, 1, v180                                // 00000000A920: 696B6881
	v_cmp_lt_u32_e64 s[92:93], v181, v189                      // 00000000A924: D0C9005C 00037BB5
	s_nop 0                                                    // 00000000A92C: BF800000
	v_cndmask_b32_e64 v45, v191, v45, s[92:93]                 // 00000000A930: D100002D 01725BBF
	v_add_u32_e32 v181, 2, v180                                // 00000000A938: 696B6882
	v_cmp_lt_u32_e64 s[92:93], v181, v189                      // 00000000A93C: D0C9005C 00037BB5
	s_nop 0                                                    // 00000000A944: BF800000
	v_cndmask_b32_e64 v46, v191, v46, s[92:93]                 // 00000000A948: D100002E 01725DBF
	v_add_u32_e32 v181, 3, v180                                // 00000000A950: 696B6883
	v_cmp_lt_u32_e64 s[92:93], v181, v189                      // 00000000A954: D0C9005C 00037BB5
	s_nop 0                                                    // 00000000A95C: BF800000
	v_cndmask_b32_e64 v47, v191, v47, s[92:93]                 // 00000000A960: D100002F 01725FBF
	v_add_u32_e32 v181, 64, v180                               // 00000000A968: 696B68C0
	v_cmp_lt_u32_e64 s[92:93], v181, v189                      // 00000000A96C: D0C9005C 00037BB5
	s_nop 0                                                    // 00000000A974: BF800000
	v_cndmask_b32_e64 v48, v191, v48, s[92:93]                 // 00000000A978: D1000030 017261BF
	v_add_u32_e32 v181, 0x41, v180                             // 00000000A980: 696B68FF 00000041
	v_cmp_lt_u32_e64 s[92:93], v181, v189                      // 00000000A988: D0C9005C 00037BB5
	s_nop 0                                                    // 00000000A990: BF800000
	v_cndmask_b32_e64 v49, v191, v49, s[92:93]                 // 00000000A994: D1000031 017263BF
	v_add_u32_e32 v181, 0x42, v180                             // 00000000A99C: 696B68FF 00000042
	v_cmp_lt_u32_e64 s[92:93], v181, v189                      // 00000000A9A4: D0C9005C 00037BB5
	s_nop 0                                                    // 00000000A9AC: BF800000
	v_cndmask_b32_e64 v50, v191, v50, s[92:93]                 // 00000000A9B0: D1000032 017265BF
	v_add_u32_e32 v181, 0x43, v180                             // 00000000A9B8: 696B68FF 00000043
	v_cmp_lt_u32_e64 s[92:93], v181, v189                      // 00000000A9C0: D0C9005C 00037BB5
	s_nop 0                                                    // 00000000A9C8: BF800000
	v_cndmask_b32_e64 v51, v191, v51, s[92:93]                 // 00000000A9CC: D1000033 017267BF
	v_add_u32_e32 v181, 0x80, v180                             // 00000000A9D4: 696B68FF 00000080
	v_cmp_lt_u32_e64 s[92:93], v181, v189                      // 00000000A9DC: D0C9005C 00037BB5
	s_nop 0                                                    // 00000000A9E4: BF800000
	v_cndmask_b32_e64 v52, v191, v52, s[92:93]                 // 00000000A9E8: D1000034 017269BF
	v_add_u32_e32 v181, 0x81, v180                             // 00000000A9F0: 696B68FF 00000081
	v_cmp_lt_u32_e64 s[92:93], v181, v189                      // 00000000A9F8: D0C9005C 00037BB5
	s_nop 0                                                    // 00000000AA00: BF800000
	v_cndmask_b32_e64 v53, v191, v53, s[92:93]                 // 00000000AA04: D1000035 01726BBF
	v_add_u32_e32 v181, 0x82, v180                             // 00000000AA0C: 696B68FF 00000082
	v_cmp_lt_u32_e64 s[92:93], v181, v189                      // 00000000AA14: D0C9005C 00037BB5
	s_nop 0                                                    // 00000000AA1C: BF800000
	v_cndmask_b32_e64 v54, v191, v54, s[92:93]                 // 00000000AA20: D1000036 01726DBF
	v_add_u32_e32 v181, 0x83, v180                             // 00000000AA28: 696B68FF 00000083
	v_cmp_lt_u32_e64 s[92:93], v181, v189                      // 00000000AA30: D0C9005C 00037BB5
	s_nop 0                                                    // 00000000AA38: BF800000
	v_cndmask_b32_e64 v55, v191, v55, s[92:93]                 // 00000000AA3C: D1000037 01726FBF
	v_add_u32_e32 v181, 0xc0, v180                             // 00000000AA44: 696B68FF 000000C0
	v_cmp_lt_u32_e64 s[92:93], v181, v189                      // 00000000AA4C: D0C9005C 00037BB5
	s_nop 0                                                    // 00000000AA54: BF800000
	v_cndmask_b32_e64 v56, v191, v56, s[92:93]                 // 00000000AA58: D1000038 017271BF
	v_add_u32_e32 v181, 0xc1, v180                             // 00000000AA60: 696B68FF 000000C1
	v_cmp_lt_u32_e64 s[92:93], v181, v189                      // 00000000AA68: D0C9005C 00037BB5
	s_nop 0                                                    // 00000000AA70: BF800000
	v_cndmask_b32_e64 v57, v191, v57, s[92:93]                 // 00000000AA74: D1000039 017273BF
	v_add_u32_e32 v181, 0xc2, v180                             // 00000000AA7C: 696B68FF 000000C2
	v_cmp_lt_u32_e64 s[92:93], v181, v189                      // 00000000AA84: D0C9005C 00037BB5
	s_nop 0                                                    // 00000000AA8C: BF800000
	v_cndmask_b32_e64 v58, v191, v58, s[92:93]                 // 00000000AA90: D100003A 017275BF
	v_add_u32_e32 v181, 0xc3, v180                             // 00000000AA98: 696B68FF 000000C3
	v_cmp_lt_u32_e64 s[92:93], v181, v189                      // 00000000AAA0: D0C9005C 00037BB5
	s_nop 0                                                    // 00000000AAA8: BF800000
	v_cndmask_b32_e64 v59, v191, v59, s[92:93]                 // 00000000AAAC: D100003B 017277BF
	v_mov_b32_e32 v146, v28                                    // 00000000AAB4: 7F24031C
	v_max3_f32 v146, v28, v29, v146                            // 00000000AAB8: D1D30092 064A3B1C
	v_max3_f32 v146, v30, v31, v146                            // 00000000AAC0: D1D30092 064A3F1E
	v_max3_f32 v146, v32, v33, v146                            // 00000000AAC8: D1D30092 064A4320
	v_max3_f32 v146, v34, v35, v146                            // 00000000AAD0: D1D30092 064A4722
	v_max3_f32 v146, v36, v37, v146                            // 00000000AAD8: D1D30092 064A4B24
	v_max3_f32 v146, v38, v39, v146                            // 00000000AAE0: D1D30092 064A4F26
	v_max3_f32 v146, v40, v41, v146                            // 00000000AAE8: D1D30092 064A5328
	v_max3_f32 v146, v42, v43, v146                            // 00000000AAF0: D1D30092 064A572A
	v_mov_b32_e32 v147, v44                                    // 00000000AAF8: 7F26032C
	v_max3_f32 v147, v44, v45, v147                            // 00000000AAFC: D1D30093 064E5B2C
	v_max3_f32 v147, v46, v47, v147                            // 00000000AB04: D1D30093 064E5F2E
	v_max3_f32 v147, v48, v49, v147                            // 00000000AB0C: D1D30093 064E6330
	v_max3_f32 v147, v50, v51, v147                            // 00000000AB14: D1D30093 064E6732
	v_max3_f32 v147, v52, v53, v147                            // 00000000AB1C: D1D30093 064E6B34
	v_max3_f32 v147, v54, v55, v147                            // 00000000AB24: D1D30093 064E6F36
	v_max3_f32 v147, v56, v57, v147                            // 00000000AB2C: D1D30093 064E7338
	v_max3_f32 v147, v58, v59, v147                            // 00000000AB34: D1D30093 064E773A
	ds_write_b64 v210, v[146:147]                              // 00000000AB3C: D89A0000 000092D2
	v_pk_mul_f32 v[108:109], v[140:141], v[108:109]            // 00000000AB44: D3B1406C 1802D98C
	v_pk_mul_f32 v[110:111], v[140:141], v[110:111]            // 00000000AB4C: D3B1406E 1802DD8C
	v_pk_mul_f32 v[112:113], v[140:141], v[112:113]            // 00000000AB54: D3B14070 1802E18C
	v_pk_mul_f32 v[114:115], v[140:141], v[114:115]            // 00000000AB5C: D3B14072 1802E58C
	v_pk_mul_f32 v[116:117], v[142:143], v[116:117]            // 00000000AB64: D3B14074 1802E98E
	v_pk_mul_f32 v[118:119], v[142:143], v[118:119]            // 00000000AB6C: D3B14076 1802ED8E
	v_pk_mul_f32 v[120:121], v[142:143], v[120:121]            // 00000000AB74: D3B14078 1802F18E
	v_pk_mul_f32 v[122:123], v[142:143], v[122:123]            // 00000000AB7C: D3B1407A 1802F58E
	s_waitcnt lgkmcnt(0)                                       // 00000000AB84: BF8CC07F
	s_barrier                                                  // 00000000AB88: BF8A0000
	ds_read_b64 v[148:149], v211                               // 00000000AB8C: D8EC0000 940000D3
	ds_read_b64 v[150:151], v211 offset:128                    // 00000000AB94: D8EC0080 960000D3
	ds_read_b64 v[152:153], v211 offset:256                    // 00000000AB9C: D8EC0100 980000D3
	ds_read_b64 v[154:155], v211 offset:384                    // 00000000ABA4: D8EC0180 9A0000D3
	ds_read_b64 v[156:157], v211 offset:512                    // 00000000ABAC: D8EC0200 9C0000D3
	ds_read_b64 v[158:159], v211 offset:640                    // 00000000ABB4: D8EC0280 9E0000D3
	ds_read_b64 v[160:161], v211 offset:768                    // 00000000ABBC: D8EC0300 A00000D3
	ds_read_b64 v[162:163], v211 offset:896                    // 00000000ABC4: D8EC0380 A20000D3
	ds_read_b64 v[164:165], v211 offset:1024                   // 00000000ABCC: D8EC0400 A40000D3
	ds_read_b64 v[166:167], v211 offset:1152                   // 00000000ABD4: D8EC0480 A60000D3
	ds_read_b64 v[168:169], v211 offset:1280                   // 00000000ABDC: D8EC0500 A80000D3
	ds_read_b64 v[170:171], v211 offset:1408                   // 00000000ABE4: D8EC0580 AA0000D3
	ds_read_b64 v[172:173], v211 offset:1536                   // 00000000ABEC: D8EC0600 AC0000D3
	ds_read_b64 v[174:175], v211 offset:1664                   // 00000000ABF4: D8EC0680 AE0000D3
	ds_read_b64 v[176:177], v211 offset:1792                   // 00000000ABFC: D8EC0700 B00000D3
	ds_read_b64 v[178:179], v211 offset:1920                   // 00000000AC04: D8EC0780 B20000D3
	v_pk_mul_f32 v[92:93], v[132:133], v[92:93]                // 00000000AC0C: D3B1405C 1802B984
	v_pk_mul_f32 v[94:95], v[132:133], v[94:95]                // 00000000AC14: D3B1405E 1802BD84
	v_pk_mul_f32 v[96:97], v[132:133], v[96:97]                // 00000000AC1C: D3B14060 1802C184
	v_pk_mul_f32 v[98:99], v[132:133], v[98:99]                // 00000000AC24: D3B14062 1802C584
	v_pk_mul_f32 v[100:101], v[134:135], v[100:101]            // 00000000AC2C: D3B14064 1802C986
	v_pk_mul_f32 v[102:103], v[134:135], v[102:103]            // 00000000AC34: D3B14066 1802CD86
	v_pk_mul_f32 v[104:105], v[134:135], v[104:105]            // 00000000AC3C: D3B14068 1802D186
	v_pk_mul_f32 v[106:107], v[134:135], v[106:107]            // 00000000AC44: D3B1406A 1802D586
	s_waitcnt lgkmcnt(0)                                       // 00000000AC4C: BF8CC07F
	v_max3_f32 v146, v148, v150, v146                          // 00000000AC50: D1D30092 064B2D94
	v_max3_f32 v147, v149, v151, v147                          // 00000000AC58: D1D30093 064F2F95
	v_max3_f32 v146, v152, v154, v146                          // 00000000AC60: D1D30092 064B3598
	v_max3_f32 v147, v153, v155, v147                          // 00000000AC68: D1D30093 064F3799
	v_max3_f32 v146, v156, v158, v146                          // 00000000AC70: D1D30092 064B3D9C
	v_max3_f32 v147, v157, v159, v147                          // 00000000AC78: D1D30093 064F3F9D
	v_max3_f32 v146, v160, v162, v146                          // 00000000AC80: D1D30092 064B45A0
	v_max3_f32 v147, v161, v163, v147                          // 00000000AC88: D1D30093 064F47A1
	v_max3_f32 v146, v164, v166, v146                          // 00000000AC90: D1D30092 064B4DA4
	v_max3_f32 v147, v165, v167, v147                          // 00000000AC98: D1D30093 064F4FA5
	v_max3_f32 v146, v168, v170, v146                          // 00000000ACA0: D1D30092 064B55A8
	v_max3_f32 v147, v169, v171, v147                          // 00000000ACA8: D1D30093 064F57A9
	v_max3_f32 v146, v172, v174, v146                          // 00000000ACB0: D1D30092 064B5DAC
	v_max3_f32 v147, v173, v175, v147                          // 00000000ACB8: D1D30093 064F5FAD
	v_max3_f32 v146, v176, v178, v146                          // 00000000ACC0: D1D30092 064B65B0
	v_max3_f32 v147, v177, v179, v147                          // 00000000ACC8: D1D30093 064F67B1
	v_max_f32_e32 v138, v146, v136                             // 00000000ACD0: 17151192
	v_mul_f32_e64 v180, -s51, v138                             // 00000000ACD4: D10500B4 20031433
	v_mov_b32_e32 v181, v180                                   // 00000000ACDC: 7F6A03B4
	v_pk_fma_f32 v[28:29], v[28:29], s[68:69], v[180:181]      // 00000000ACE0: D3B0401C 1ED0891C
	v_pk_fma_f32 v[30:31], v[30:31], s[68:69], v[180:181]      // 00000000ACE8: D3B0401E 1ED0891E
	v_exp_f32_e32 v28, v28                                     // 00000000ACF0: 7E38411C
	v_exp_f32_e32 v29, v29                                     // 00000000ACF4: 7E3A411D
	v_exp_f32_e32 v30, v30                                     // 00000000ACF8: 7E3C411E
	v_exp_f32_e32 v31, v31                                     // 00000000ACFC: 7E3E411F
	v_pk_fma_f32 v[32:33], v[32:33], s[68:69], v[180:181]      // 00000000AD00: D3B04020 1ED08920
	v_pk_fma_f32 v[34:35], v[34:35], s[68:69], v[180:181]      // 00000000AD08: D3B04022 1ED08922
	v_exp_f32_e32 v32, v32                                     // 00000000AD10: 7E404120
	v_exp_f32_e32 v33, v33                                     // 00000000AD14: 7E424121
	v_exp_f32_e32 v34, v34                                     // 00000000AD18: 7E444122
	v_exp_f32_e32 v35, v35                                     // 00000000AD1C: 7E464123
	v_pk_fma_f32 v[36:37], v[36:37], s[68:69], v[180:181]      // 00000000AD20: D3B04024 1ED08924
	v_pk_fma_f32 v[38:39], v[38:39], s[68:69], v[180:181]      // 00000000AD28: D3B04026 1ED08926
	v_exp_f32_e32 v36, v36                                     // 00000000AD30: 7E484124
	v_exp_f32_e32 v37, v37                                     // 00000000AD34: 7E4A4125
	v_exp_f32_e32 v38, v38                                     // 00000000AD38: 7E4C4126
	v_exp_f32_e32 v39, v39                                     // 00000000AD3C: 7E4E4127
	v_pk_fma_f32 v[40:41], v[40:41], s[68:69], v[180:181]      // 00000000AD40: D3B04028 1ED08928
	v_pk_fma_f32 v[42:43], v[42:43], s[68:69], v[180:181]      // 00000000AD48: D3B0402A 1ED0892A
	v_exp_f32_e32 v40, v40                                     // 00000000AD50: 7E504128
	v_exp_f32_e32 v41, v41                                     // 00000000AD54: 7E524129
	v_exp_f32_e32 v42, v42                                     // 00000000AD58: 7E54412A
	v_exp_f32_e32 v43, v43                                     // 00000000AD5C: 7E56412B
	v_max_f32_e32 v139, v147, v137                             // 00000000AD60: 17171393
	v_mul_f32_e64 v180, -s51, v139                             // 00000000AD64: D10500B4 20031633
	v_mov_b32_e32 v181, v180                                   // 00000000AD6C: 7F6A03B4
	v_pk_fma_f32 v[44:45], v[44:45], s[68:69], v[180:181]      // 00000000AD70: D3B0402C 1ED0892C
	v_pk_fma_f32 v[46:47], v[46:47], s[68:69], v[180:181]      // 00000000AD78: D3B0402E 1ED0892E
	v_exp_f32_e32 v44, v44                                     // 00000000AD80: 7E58412C
	v_exp_f32_e32 v45, v45                                     // 00000000AD84: 7E5A412D
	v_exp_f32_e32 v46, v46                                     // 00000000AD88: 7E5C412E
	v_exp_f32_e32 v47, v47                                     // 00000000AD8C: 7E5E412F
	v_pk_fma_f32 v[48:49], v[48:49], s[68:69], v[180:181]      // 00000000AD90: D3B04030 1ED08930
	v_pk_fma_f32 v[50:51], v[50:51], s[68:69], v[180:181]      // 00000000AD98: D3B04032 1ED08932
	v_exp_f32_e32 v48, v48                                     // 00000000ADA0: 7E604130
	v_exp_f32_e32 v49, v49                                     // 00000000ADA4: 7E624131
	v_exp_f32_e32 v50, v50                                     // 00000000ADA8: 7E644132
	v_exp_f32_e32 v51, v51                                     // 00000000ADAC: 7E664133
	v_pk_fma_f32 v[52:53], v[52:53], s[68:69], v[180:181]      // 00000000ADB0: D3B04034 1ED08934
	v_pk_fma_f32 v[54:55], v[54:55], s[68:69], v[180:181]      // 00000000ADB8: D3B04036 1ED08936
	v_exp_f32_e32 v52, v52                                     // 00000000ADC0: 7E684134
	v_exp_f32_e32 v53, v53                                     // 00000000ADC4: 7E6A4135
	v_exp_f32_e32 v54, v54                                     // 00000000ADC8: 7E6C4136
	v_exp_f32_e32 v55, v55                                     // 00000000ADCC: 7E6E4137
	v_pk_fma_f32 v[56:57], v[56:57], s[68:69], v[180:181]      // 00000000ADD0: D3B04038 1ED08938
	v_pk_fma_f32 v[58:59], v[58:59], s[68:69], v[180:181]      // 00000000ADD8: D3B0403A 1ED0893A
	v_exp_f32_e32 v56, v56                                     // 00000000ADE0: 7E704138
	v_exp_f32_e32 v57, v57                                     // 00000000ADE4: 7E724139
	v_exp_f32_e32 v58, v58                                     // 00000000ADE8: 7E74413A
	v_exp_f32_e32 v59, v59                                     // 00000000ADEC: 7E76413B
	v_mul_f32_dpp v60, v131, v28 row_newbcast:0 row_mask:0xf bank_mask:0xf// 00000000ADF0: 0A7838FA FF015083
	v_mul_f32_dpp v61, v131, v29 row_newbcast:1 row_mask:0xf bank_mask:0xf// 00000000ADF8: 0A7A3AFA FF015183
	v_mul_f32_dpp v62, v131, v30 row_newbcast:2 row_mask:0xf bank_mask:0xf// 00000000AE00: 0A7C3CFA FF015283
	v_mul_f32_dpp v63, v131, v31 row_newbcast:3 row_mask:0xf bank_mask:0xf// 00000000AE08: 0A7E3EFA FF015383
	v_mul_f32_dpp v64, v131, v32 row_newbcast:4 row_mask:0xf bank_mask:0xf// 00000000AE10: 0A8040FA FF015483
	v_mul_f32_dpp v65, v131, v33 row_newbcast:5 row_mask:0xf bank_mask:0xf// 00000000AE18: 0A8242FA FF015583
	v_mul_f32_dpp v66, v131, v34 row_newbcast:6 row_mask:0xf bank_mask:0xf// 00000000AE20: 0A8444FA FF015683
	v_mul_f32_dpp v67, v131, v35 row_newbcast:7 row_mask:0xf bank_mask:0xf// 00000000AE28: 0A8646FA FF015783
	v_mul_f32_dpp v68, v131, v36 row_newbcast:8 row_mask:0xf bank_mask:0xf// 00000000AE30: 0A8848FA FF015883
	v_mul_f32_dpp v69, v131, v37 row_newbcast:9 row_mask:0xf bank_mask:0xf// 00000000AE38: 0A8A4AFA FF015983
	v_mul_f32_dpp v70, v131, v38 row_newbcast:10 row_mask:0xf bank_mask:0xf// 00000000AE40: 0A8C4CFA FF015A83
	v_mul_f32_dpp v71, v131, v39 row_newbcast:11 row_mask:0xf bank_mask:0xf// 00000000AE48: 0A8E4EFA FF015B83
	v_mul_f32_dpp v72, v131, v40 row_newbcast:12 row_mask:0xf bank_mask:0xf// 00000000AE50: 0A9050FA FF015C83
	v_mul_f32_dpp v73, v131, v41 row_newbcast:13 row_mask:0xf bank_mask:0xf// 00000000AE58: 0A9252FA FF015D83
	v_mul_f32_dpp v74, v131, v42 row_newbcast:14 row_mask:0xf bank_mask:0xf// 00000000AE60: 0A9454FA FF015E83
	v_mul_f32_dpp v75, v131, v43 row_newbcast:15 row_mask:0xf bank_mask:0xf// 00000000AE68: 0A9656FA FF015F83
	v_mul_f32_dpp v76, v131, v44 row_newbcast:0 row_mask:0xf bank_mask:0xf// 00000000AE70: 0A9858FA FF015083
	v_mul_f32_dpp v77, v131, v45 row_newbcast:1 row_mask:0xf bank_mask:0xf// 00000000AE78: 0A9A5AFA FF015183
	v_mul_f32_dpp v78, v131, v46 row_newbcast:2 row_mask:0xf bank_mask:0xf// 00000000AE80: 0A9C5CFA FF015283
	v_mul_f32_dpp v79, v131, v47 row_newbcast:3 row_mask:0xf bank_mask:0xf// 00000000AE88: 0A9E5EFA FF015383
	v_mul_f32_dpp v80, v131, v48 row_newbcast:4 row_mask:0xf bank_mask:0xf// 00000000AE90: 0AA060FA FF015483
	v_mul_f32_dpp v81, v131, v49 row_newbcast:5 row_mask:0xf bank_mask:0xf// 00000000AE98: 0AA262FA FF015583
	v_mul_f32_dpp v82, v131, v50 row_newbcast:6 row_mask:0xf bank_mask:0xf// 00000000AEA0: 0AA464FA FF015683
	v_mul_f32_dpp v83, v131, v51 row_newbcast:7 row_mask:0xf bank_mask:0xf// 00000000AEA8: 0AA666FA FF015783
	v_mul_f32_dpp v84, v131, v52 row_newbcast:8 row_mask:0xf bank_mask:0xf// 00000000AEB0: 0AA868FA FF015883
	v_mul_f32_dpp v85, v131, v53 row_newbcast:9 row_mask:0xf bank_mask:0xf// 00000000AEB8: 0AAA6AFA FF015983
	v_mul_f32_dpp v86, v131, v54 row_newbcast:10 row_mask:0xf bank_mask:0xf// 00000000AEC0: 0AAC6CFA FF015A83
	v_mul_f32_dpp v87, v131, v55 row_newbcast:11 row_mask:0xf bank_mask:0xf// 00000000AEC8: 0AAE6EFA FF015B83
	v_mul_f32_dpp v88, v131, v56 row_newbcast:12 row_mask:0xf bank_mask:0xf// 00000000AED0: 0AB070FA FF015C83
	v_mul_f32_dpp v89, v131, v57 row_newbcast:13 row_mask:0xf bank_mask:0xf// 00000000AED8: 0AB272FA FF015D83
	v_mul_f32_dpp v90, v131, v58 row_newbcast:14 row_mask:0xf bank_mask:0xf// 00000000AEE0: 0AB474FA FF015E83
	v_mul_f32_dpp v91, v131, v59 row_newbcast:15 row_mask:0xf bank_mask:0xf// 00000000AEE8: 0AB676FA FF015F83
	v_mov_b32_e32 v146, 0x358637bd                             // 00000000AEF0: 7F2402FF 358637BD
	v_max3_f32 v146, |v60|, |v61|, v146                        // 00000000AEF8: D1D30392 064A7B3C
	v_max3_f32 v146, |v62|, |v63|, v146                        // 00000000AF00: D1D30392 064A7F3E
	v_max3_f32 v146, |v64|, |v65|, v146                        // 00000000AF08: D1D30392 064A8340
	v_max3_f32 v146, |v66|, |v67|, v146                        // 00000000AF10: D1D30392 064A8742
	v_max3_f32 v146, |v68|, |v69|, v146                        // 00000000AF18: D1D30392 064A8B44
	v_max3_f32 v146, |v70|, |v71|, v146                        // 00000000AF20: D1D30392 064A8F46
	v_max3_f32 v146, |v72|, |v73|, v146                        // 00000000AF28: D1D30392 064A9348
	v_max3_f32 v146, |v74|, |v75|, v146                        // 00000000AF30: D1D30392 064A974A
	v_mov_b32_e32 v147, 0x358637bd                             // 00000000AF38: 7F2602FF 358637BD
	v_max3_f32 v147, |v76|, |v77|, v147                        // 00000000AF40: D1D30393 064E9B4C
	v_max3_f32 v147, |v78|, |v79|, v147                        // 00000000AF48: D1D30393 064E9F4E
	v_max3_f32 v147, |v80|, |v81|, v147                        // 00000000AF50: D1D30393 064EA350
	v_max3_f32 v147, |v82|, |v83|, v147                        // 00000000AF58: D1D30393 064EA752
	v_max3_f32 v147, |v84|, |v85|, v147                        // 00000000AF60: D1D30393 064EAB54
	v_max3_f32 v147, |v86|, |v87|, v147                        // 00000000AF68: D1D30393 064EAF56
	v_max3_f32 v147, |v88|, |v89|, v147                        // 00000000AF70: D1D30393 064EB358
	v_max3_f32 v147, |v90|, |v91|, v147                        // 00000000AF78: D1D30393 064EB75A
	ds_write_b64 v210, v[146:147] offset:2304                  // 00000000AF80: D89A0900 000092D2
	buffer_load_dword v128, v202, s[28:31], 0 offen            // 00000000AF88: E0501000 800780CA
	v_sub_f32_e32 v140, v136, v138                             // 00000000AF90: 05191588
	v_cmp_eq_u32_e64 s[92:93], v191, v136                      // 00000000AF94: D0CA005C 000311BF
	s_nop 0                                                    // 00000000AF9C: BF800000
	v_cndmask_b32_e64 v140, v140, 0, s[92:93]                  // 00000000AFA0: D100008C 0171018C
	v_mov_b32_e32 v136, v138                                   // 00000000AFA8: 7F10038A
	v_mul_f32_e32 v140, s51, v140                              // 00000000AFAC: 0B191833
	v_exp_f32_e32 v140, v140                                   // 00000000AFB0: 7F18418C
	v_sub_f32_e32 v142, v137, v139                             // 00000000AFB4: 051D1789
	v_cmp_eq_u32_e64 s[92:93], v191, v137                      // 00000000AFB8: D0CA005C 000313BF
	s_nop 0                                                    // 00000000AFC0: BF800000
	v_cndmask_b32_e64 v142, v142, 0, s[92:93]                  // 00000000AFC4: D100008E 0171018E
	v_mov_b32_e32 v137, v139                                   // 00000000AFCC: 7F12038B
	v_mul_f32_e32 v142, s51, v142                              // 00000000AFD0: 0B1D1C33
	v_exp_f32_e32 v142, v142                                   // 00000000AFD4: 7F1C418E
	v_mov_b32_e32 v141, v140                                   // 00000000AFD8: 7F1A038C
	v_mov_b32_e32 v143, v142                                   // 00000000AFDC: 7F1E038E
	buffer_load_dword v130, v203, s[32:35], 0 offen            // 00000000AFE0: E0501000 800882CB
	s_waitcnt lgkmcnt(0)                                       // 00000000AFE8: BF8CC07F
	s_barrier                                                  // 00000000AFEC: BF8A0000
	ds_read_b64 v[148:149], v211 offset:2304                   // 00000000AFF0: D8EC0900 940000D3
	ds_read_b64 v[150:151], v211 offset:2432                   // 00000000AFF8: D8EC0980 960000D3
	ds_read_b64 v[152:153], v211 offset:2560                   // 00000000B000: D8EC0A00 980000D3
	ds_read_b64 v[154:155], v211 offset:2688                   // 00000000B008: D8EC0A80 9A0000D3
	ds_read_b64 v[156:157], v211 offset:2816                   // 00000000B010: D8EC0B00 9C0000D3
	ds_read_b64 v[158:159], v211 offset:2944                   // 00000000B018: D8EC0B80 9E0000D3
	ds_read_b64 v[160:161], v211 offset:3072                   // 00000000B020: D8EC0C00 A00000D3
	ds_read_b64 v[162:163], v211 offset:3200                   // 00000000B028: D8EC0C80 A20000D3
	ds_read_b64 v[164:165], v211 offset:3328                   // 00000000B030: D8EC0D00 A40000D3
	ds_read_b64 v[166:167], v211 offset:3456                   // 00000000B038: D8EC0D80 A60000D3
	ds_read_b64 v[168:169], v211 offset:3584                   // 00000000B040: D8EC0E00 A80000D3
	ds_read_b64 v[170:171], v211 offset:3712                   // 00000000B048: D8EC0E80 AA0000D3
	ds_read_b64 v[172:173], v211 offset:3840                   // 00000000B050: D8EC0F00 AC0000D3
	ds_read_b64 v[174:175], v211 offset:3968                   // 00000000B058: D8EC0F80 AE0000D3
	ds_read_b64 v[176:177], v211 offset:4096                   // 00000000B060: D8EC1000 B00000D3
	ds_read_b64 v[178:179], v211 offset:4224                   // 00000000B068: D8EC1080 B20000D3
	v_mul_f32_e32 v144, v140, v144                             // 00000000B070: 0B21218C
	v_add_f32_e32 v144, v28, v144                              // 00000000B074: 0321211C
	v_add_f32_e32 v144, v29, v144                              // 00000000B078: 0321211D
	v_add_f32_e32 v144, v30, v144                              // 00000000B07C: 0321211E
	v_add_f32_e32 v144, v31, v144                              // 00000000B080: 0321211F
	v_add_f32_e32 v144, v32, v144                              // 00000000B084: 03212120
	v_add_f32_e32 v144, v33, v144                              // 00000000B088: 03212121
	v_add_f32_e32 v144, v34, v144                              // 00000000B08C: 03212122
	v_add_f32_e32 v144, v35, v144                              // 00000000B090: 03212123
	v_add_f32_e32 v144, v36, v144                              // 00000000B094: 03212124
	v_add_f32_e32 v144, v37, v144                              // 00000000B098: 03212125
	v_add_f32_e32 v144, v38, v144                              // 00000000B09C: 03212126
	v_add_f32_e32 v144, v39, v144                              // 00000000B0A0: 03212127
	v_add_f32_e32 v144, v40, v144                              // 00000000B0A4: 03212128
	v_add_f32_e32 v144, v41, v144                              // 00000000B0A8: 03212129
	v_add_f32_e32 v144, v42, v144                              // 00000000B0AC: 0321212A
	v_add_f32_e32 v144, v43, v144                              // 00000000B0B0: 0321212B
	v_mul_f32_e32 v145, v142, v145                             // 00000000B0B4: 0B23238E
	v_add_f32_e32 v145, v44, v145                              // 00000000B0B8: 0323232C
	v_add_f32_e32 v145, v45, v145                              // 00000000B0BC: 0323232D
	v_add_f32_e32 v145, v46, v145                              // 00000000B0C0: 0323232E
	v_add_f32_e32 v145, v47, v145                              // 00000000B0C4: 0323232F
	v_add_f32_e32 v145, v48, v145                              // 00000000B0C8: 03232330
	v_add_f32_e32 v145, v49, v145                              // 00000000B0CC: 03232331
	v_add_f32_e32 v145, v50, v145                              // 00000000B0D0: 03232332
	v_add_f32_e32 v145, v51, v145                              // 00000000B0D4: 03232333
	v_add_f32_e32 v145, v52, v145                              // 00000000B0D8: 03232334
	v_add_f32_e32 v145, v53, v145                              // 00000000B0DC: 03232335
	v_add_f32_e32 v145, v54, v145                              // 00000000B0E0: 03232336
	v_add_f32_e32 v145, v55, v145                              // 00000000B0E4: 03232337
	v_add_f32_e32 v145, v56, v145                              // 00000000B0E8: 03232338
	v_add_f32_e32 v145, v57, v145                              // 00000000B0EC: 03232339
	v_add_f32_e32 v145, v58, v145                              // 00000000B0F0: 0323233A
	v_add_f32_e32 v145, v59, v145                              // 00000000B0F4: 0323233B
	s_waitcnt lgkmcnt(0)                                       // 00000000B0F8: BF8CC07F
	v_max3_f32 v146, v148, v150, v146                          // 00000000B0FC: D1D30092 064B2D94
	v_max3_f32 v147, v149, v151, v147                          // 00000000B104: D1D30093 064F2F95
	v_max3_f32 v146, v152, v154, v146                          // 00000000B10C: D1D30092 064B3598
	v_max3_f32 v147, v153, v155, v147                          // 00000000B114: D1D30093 064F3799
	v_max3_f32 v146, v156, v158, v146                          // 00000000B11C: D1D30092 064B3D9C
	v_max3_f32 v147, v157, v159, v147                          // 00000000B124: D1D30093 064F3F9D
	v_max3_f32 v146, v160, v162, v146                          // 00000000B12C: D1D30092 064B45A0
	v_max3_f32 v147, v161, v163, v147                          // 00000000B134: D1D30093 064F47A1
	v_max3_f32 v146, v164, v166, v146                          // 00000000B13C: D1D30092 064B4DA4
	v_max3_f32 v147, v165, v167, v147                          // 00000000B144: D1D30093 064F4FA5
	v_max3_f32 v146, v168, v170, v146                          // 00000000B14C: D1D30092 064B55A8
	v_max3_f32 v147, v169, v171, v147                          // 00000000B154: D1D30093 064F57A9
	v_max3_f32 v146, v172, v174, v146                          // 00000000B15C: D1D30092 064B5DAC
	v_max3_f32 v147, v173, v175, v147                          // 00000000B164: D1D30093 064F5FAD
	v_max3_f32 v146, v176, v178, v146                          // 00000000B16C: D1D30092 064B65B0
	v_max3_f32 v147, v177, v179, v147                          // 00000000B174: D1D30093 064F67B1
	v_rcp_f32_e32 v146, v146                                   // 00000000B17C: 7F244592
	v_rcp_f32_e32 v147, v147                                   // 00000000B180: 7F264593
	v_mul_f32_e32 v146, 0x43700000, v146                       // 00000000B184: 0B2524FF 43700000
	v_mul_f32_e32 v147, 0x43700000, v147                       // 00000000B18C: 0B2726FF 43700000
	v_mul_f32_e32 v28, v146, v60                               // 00000000B194: 0A387992
	v_mul_f32_e32 v29, v146, v61                               // 00000000B198: 0A3A7B92
	v_mul_f32_e32 v30, v146, v62                               // 00000000B19C: 0A3C7D92
	v_mul_f32_e32 v31, v146, v63                               // 00000000B1A0: 0A3E7F92
	v_mul_f32_e32 v32, v146, v64                               // 00000000B1A4: 0A408192
	v_mul_f32_e32 v33, v146, v65                               // 00000000B1A8: 0A428392
	v_mul_f32_e32 v34, v146, v66                               // 00000000B1AC: 0A448592
	v_mul_f32_e32 v35, v146, v67                               // 00000000B1B0: 0A468792
	v_mul_f32_e32 v36, v146, v68                               // 00000000B1B4: 0A488992
	v_mul_f32_e32 v37, v146, v69                               // 00000000B1B8: 0A4A8B92
	v_mul_f32_e32 v38, v146, v70                               // 00000000B1BC: 0A4C8D92
	v_mul_f32_e32 v39, v146, v71                               // 00000000B1C0: 0A4E8F92
	v_mul_f32_e32 v40, v146, v72                               // 00000000B1C4: 0A509192
	v_mul_f32_e32 v41, v146, v73                               // 00000000B1C8: 0A529392
	v_mul_f32_e32 v42, v146, v74                               // 00000000B1CC: 0A549592
	v_mul_f32_e32 v43, v146, v75                               // 00000000B1D0: 0A569792
	v_mul_f32_e32 v44, v147, v76                               // 00000000B1D4: 0A589993
	v_mul_f32_e32 v45, v147, v77                               // 00000000B1D8: 0A5A9B93
	v_mul_f32_e32 v46, v147, v78                               // 00000000B1DC: 0A5C9D93
	v_mul_f32_e32 v47, v147, v79                               // 00000000B1E0: 0A5E9F93
	v_mul_f32_e32 v48, v147, v80                               // 00000000B1E4: 0A60A193
	v_mul_f32_e32 v49, v147, v81                               // 00000000B1E8: 0A62A393
	v_mul_f32_e32 v50, v147, v82                               // 00000000B1EC: 0A64A593
	v_mul_f32_e32 v51, v147, v83                               // 00000000B1F0: 0A66A793
	v_mul_f32_e32 v52, v147, v84                               // 00000000B1F4: 0A68A993
	v_mul_f32_e32 v53, v147, v85                               // 00000000B1F8: 0A6AAB93
	v_mul_f32_e32 v54, v147, v86                               // 00000000B1FC: 0A6CAD93
	v_mul_f32_e32 v55, v147, v87                               // 00000000B200: 0A6EAF93
	v_mul_f32_e32 v56, v147, v88                               // 00000000B204: 0A70B193
	v_mul_f32_e32 v57, v147, v89                               // 00000000B208: 0A72B393
	v_mul_f32_e32 v58, v147, v90                               // 00000000B20C: 0A74B593
	v_mul_f32_e32 v59, v147, v91                               // 00000000B210: 0A76B793
	v_cvt_pk_fp8_f32 v28, v28, v29                             // 00000000B214: D2A2001C 00023B1C
	v_cvt_pk_fp8_f32 v28, v30, v31 op_sel:[0,0,1]              // 00000000B21C: D2A2401C 00023F1E
	v_cvt_pk_fp8_f32 v29, v32, v33                             // 00000000B224: D2A2001D 00024320
	v_cvt_pk_fp8_f32 v29, v34, v35 op_sel:[0,0,1]              // 00000000B22C: D2A2401D 00024722
	v_cvt_pk_fp8_f32 v30, v36, v37                             // 00000000B234: D2A2001E 00024B24
	v_cvt_pk_fp8_f32 v30, v38, v39 op_sel:[0,0,1]              // 00000000B23C: D2A2401E 00024F26
	v_cvt_pk_fp8_f32 v31, v40, v41                             // 00000000B244: D2A2001F 00025328
	v_cvt_pk_fp8_f32 v31, v42, v43 op_sel:[0,0,1]              // 00000000B24C: D2A2401F 0002572A
	v_cvt_pk_fp8_f32 v32, v44, v45                             // 00000000B254: D2A20020 00025B2C
	v_cvt_pk_fp8_f32 v32, v46, v47 op_sel:[0,0,1]              // 00000000B25C: D2A24020 00025F2E
	v_cvt_pk_fp8_f32 v33, v48, v49                             // 00000000B264: D2A20021 00026330
	v_cvt_pk_fp8_f32 v33, v50, v51 op_sel:[0,0,1]              // 00000000B26C: D2A24021 00026732
	v_cvt_pk_fp8_f32 v34, v52, v53                             // 00000000B274: D2A20022 00026B34
	v_cvt_pk_fp8_f32 v34, v54, v55 op_sel:[0,0,1]              // 00000000B27C: D2A24022 00026F36
	v_cvt_pk_fp8_f32 v35, v56, v57                             // 00000000B284: D2A20023 00027338
	v_cvt_pk_fp8_f32 v35, v58, v59 op_sel:[0,0,1]              // 00000000B28C: D2A24023 0002773A
	ds_write_b32 v212, v28 offset:4608                         // 00000000B294: D81A1200 00001CD4
	ds_write_b32 v212, v29 offset:5632                         // 00000000B29C: D81A1600 00001DD4
	ds_write_b32 v212, v30 offset:6656                         // 00000000B2A4: D81A1A00 00001ED4
	ds_write_b32 v212, v31 offset:7680                         // 00000000B2AC: D81A1E00 00001FD4
	ds_write_b32 v212, v32 offset:8704                         // 00000000B2B4: D81A2200 000020D4
	ds_write_b32 v212, v33 offset:9728                         // 00000000B2BC: D81A2600 000021D4
	ds_write_b32 v212, v34 offset:10752                        // 00000000B2C4: D81A2A00 000022D4
	ds_write_b32 v212, v35 offset:11776                        // 00000000B2CC: D81A2E00 000023D4
	v_rcp_f32_e32 v132, v146                                   // 00000000B2D4: 7F084592
	v_rcp_f32_e32 v134, v147                                   // 00000000B2D8: 7F0C4593
	v_mov_b32_e32 v133, v132                                   // 00000000B2DC: 7F0A0384
	v_mov_b32_e32 v135, v134                                   // 00000000B2E0: 7F0E0386
	v_pk_add_f32 v[108:109], v[108:109], v[92:93]              // 00000000B2E4: D3B2406C 1802B96C
	v_pk_add_f32 v[110:111], v[110:111], v[94:95]              // 00000000B2EC: D3B2406E 1802BD6E
	v_pk_add_f32 v[112:113], v[112:113], v[96:97]              // 00000000B2F4: D3B24070 1802C170
	v_pk_add_f32 v[114:115], v[114:115], v[98:99]              // 00000000B2FC: D3B24072 1802C572
	v_pk_add_f32 v[116:117], v[116:117], v[100:101]            // 00000000B304: D3B24074 1802C974
	v_pk_add_f32 v[118:119], v[118:119], v[102:103]            // 00000000B30C: D3B24076 1802CD76
	v_pk_add_f32 v[120:121], v[120:121], v[104:105]            // 00000000B314: D3B24078 1802D178
	v_pk_add_f32 v[122:123], v[122:123], v[106:107]            // 00000000B31C: D3B2407A 1802D57A
	s_waitcnt lgkmcnt(0)                                       // 00000000B324: BF8CC07F
	s_barrier                                                  // 00000000B328: BF8A0000
	ds_read_b128 v[28:31], v213 offset:4608                    // 00000000B32C: D9FE1200 1C0000D5
	ds_read_b128 v[32:35], v213 offset:5632                    // 00000000B334: D9FE1600 200000D5
	ds_read_b128 v[36:39], v213 offset:6656                    // 00000000B33C: D9FE1A00 240000D5
	ds_read_b128 v[40:43], v213 offset:7680                    // 00000000B344: D9FE1E00 280000D5
	ds_read_b128 v[44:47], v213 offset:8704                    // 00000000B34C: D9FE2200 2C0000D5
	ds_read_b128 v[48:51], v213 offset:9728                    // 00000000B354: D9FE2600 300000D5
	ds_read_b128 v[52:55], v213 offset:10752                   // 00000000B35C: D9FE2A00 340000D5
	ds_read_b128 v[56:59], v213 offset:11776                   // 00000000B364: D9FE2E00 380000D5
	s_waitcnt vmcnt(10)                                        // 00000000B36C: BF8C0F7A
	s_waitcnt lgkmcnt(7)                                       // 00000000B370: BF8CC77F
	v_mfma_f32_16x16x32_fp8_fp8 v[92:95], a[96:97], v[28:29], 0// 00000000B374: D3F3005C 0A023960
	v_mfma_f32_16x16x32_fp8_fp8 v[96:99], a[112:113], v[28:29], 0// 00000000B37C: D3F30060 0A023970
	v_mfma_f32_16x16x32_fp8_fp8 v[92:95], a[98:99], v[30:31], v[92:95]// 00000000B384: D3F3005C 0D723D62
	buffer_load_dwordx4 a[64:67], v198, s[16:19], 0 offen      // 00000000B38C: E05C1000 808440C6
	v_mfma_f32_16x16x32_fp8_fp8 v[96:99], a[114:115], v[30:31], v[96:99]// 00000000B394: D3F30060 0D823D72
	s_waitcnt lgkmcnt(6)                                       // 00000000B39C: BF8CC67F
	v_mfma_f32_16x16x32_fp8_fp8 v[92:95], a[100:101], v[32:33], v[92:95]// 00000000B3A0: D3F3005C 0D724164
	v_mfma_f32_16x16x32_fp8_fp8 v[96:99], a[116:117], v[32:33], v[96:99]// 00000000B3A8: D3F30060 0D824174
	v_mfma_f32_16x16x32_fp8_fp8 v[92:95], a[102:103], v[34:35], v[92:95]// 00000000B3B0: D3F3005C 0D724566
	buffer_load_dwordx4 a[68:71], v199, s[16:19], 0 offen      // 00000000B3B8: E05C1000 808444C7
	v_mfma_f32_16x16x32_fp8_fp8 v[96:99], a[118:119], v[34:35], v[96:99]// 00000000B3C0: D3F30060 0D824576
	s_waitcnt lgkmcnt(5)                                       // 00000000B3C8: BF8CC57F
	v_mfma_f32_16x16x32_fp8_fp8 v[92:95], a[104:105], v[36:37], v[92:95]// 00000000B3CC: D3F3005C 0D724968
	v_mfma_f32_16x16x32_fp8_fp8 v[96:99], a[120:121], v[36:37], v[96:99]// 00000000B3D4: D3F30060 0D824978
	v_mfma_f32_16x16x32_fp8_fp8 v[92:95], a[106:107], v[38:39], v[92:95]// 00000000B3DC: D3F3005C 0D724D6A
	buffer_load_dwordx4 a[72:75], v200, s[16:19], 0 offen      // 00000000B3E4: E05C1000 808448C8
	v_mfma_f32_16x16x32_fp8_fp8 v[96:99], a[122:123], v[38:39], v[96:99]// 00000000B3EC: D3F30060 0D824D7A
	s_waitcnt lgkmcnt(4)                                       // 00000000B3F4: BF8CC47F
	v_mfma_f32_16x16x32_fp8_fp8 v[92:95], a[108:109], v[40:41], v[92:95]// 00000000B3F8: D3F3005C 0D72516C
	v_mfma_f32_16x16x32_fp8_fp8 v[96:99], a[124:125], v[40:41], v[96:99]// 00000000B400: D3F30060 0D82517C
	v_mfma_f32_16x16x32_fp8_fp8 v[92:95], a[110:111], v[42:43], v[92:95]// 00000000B408: D3F3005C 0D72556E
	buffer_load_dwordx4 a[76:79], v201, s[16:19], 0 offen      // 00000000B410: E05C1000 80844CC9
	v_mfma_f32_16x16x32_fp8_fp8 v[96:99], a[126:127], v[42:43], v[96:99]// 00000000B418: D3F30060 0D82557E
	s_waitcnt lgkmcnt(3)                                       // 00000000B420: BF8CC37F
	v_mfma_f32_16x16x32_fp8_fp8 v[100:103], a[96:97], v[44:45], 0// 00000000B424: D3F30064 0A025960
	v_mfma_f32_16x16x32_fp8_fp8 v[104:107], a[112:113], v[44:45], 0// 00000000B42C: D3F30068 0A025970
	v_mfma_f32_16x16x32_fp8_fp8 v[100:103], a[98:99], v[46:47], v[100:103]// 00000000B434: D3F30064 0D925D62
	buffer_load_dwordx4 a[80:83], v198, s[16:19], 0 offen offset:1024// 00000000B43C: E05C1400 808450C6
	v_mfma_f32_16x16x32_fp8_fp8 v[104:107], a[114:115], v[46:47], v[104:107]// 00000000B444: D3F30068 0DA25D72
	s_waitcnt lgkmcnt(2)                                       // 00000000B44C: BF8CC27F
	v_mfma_f32_16x16x32_fp8_fp8 v[100:103], a[100:101], v[48:49], v[100:103]// 00000000B450: D3F30064 0D926164
	v_mfma_f32_16x16x32_fp8_fp8 v[104:107], a[116:117], v[48:49], v[104:107]// 00000000B458: D3F30068 0DA26174
	v_mfma_f32_16x16x32_fp8_fp8 v[100:103], a[102:103], v[50:51], v[100:103]// 00000000B460: D3F30064 0D926566
	buffer_load_dwordx4 a[84:87], v199, s[16:19], 0 offen offset:1024// 00000000B468: E05C1400 808454C7
	v_mfma_f32_16x16x32_fp8_fp8 v[104:107], a[118:119], v[50:51], v[104:107]// 00000000B470: D3F30068 0DA26576
	s_waitcnt lgkmcnt(1)                                       // 00000000B478: BF8CC17F
	v_mfma_f32_16x16x32_fp8_fp8 v[100:103], a[104:105], v[52:53], v[100:103]// 00000000B47C: D3F30064 0D926968
	v_mfma_f32_16x16x32_fp8_fp8 v[104:107], a[120:121], v[52:53], v[104:107]// 00000000B484: D3F30068 0DA26978
	v_mfma_f32_16x16x32_fp8_fp8 v[100:103], a[106:107], v[54:55], v[100:103]// 00000000B48C: D3F30064 0D926D6A
	buffer_load_dwordx4 a[88:91], v200, s[16:19], 0 offen offset:1024// 00000000B494: E05C1400 808458C8
	v_mfma_f32_16x16x32_fp8_fp8 v[104:107], a[122:123], v[54:55], v[104:107]// 00000000B49C: D3F30068 0DA26D7A
	s_waitcnt lgkmcnt(0)                                       // 00000000B4A4: BF8CC07F
	v_mfma_f32_16x16x32_fp8_fp8 v[100:103], a[108:109], v[56:57], v[100:103]// 00000000B4A8: D3F30064 0D92716C
	v_mfma_f32_16x16x32_fp8_fp8 v[104:107], a[124:125], v[56:57], v[104:107]// 00000000B4B0: D3F30068 0DA2717C
	v_mfma_f32_16x16x32_fp8_fp8 v[100:103], a[110:111], v[58:59], v[100:103]// 00000000B4B8: D3F30064 0D92756E
	buffer_load_dwordx4 a[92:95], v201, s[16:19], 0 offen offset:1024// 00000000B4C0: E05C1400 80845CC9
	v_mfma_f32_16x16x32_fp8_fp8 v[104:107], a[126:127], v[58:59], v[104:107]// 00000000B4C8: D3F30068 0DA2757E
	s_addk_i32 s49, 0x100                                      // 00000000B4D0: B7310100
	s_branch label_2D37                                        // 00000000B4D4: BF820841

000000000000b4d8 <label_24F6>:
	s_cmp_lt_i32 s49, s60                                      // 00000000B4D8: BF043C31
	s_cbranch_scc0 label_2D37                                  // 00000000B4DC: BF84083F
	s_waitcnt vmcnt(10)                                        // 00000000B4E0: BF8C0F7A
	v_mfma_f32_16x16x32_fp8_fp8 v[28:31], a[0:1], v[12:13], 0  // 00000000B4E4: D3F3001C 0A021900
	s_add_u32 s12, s84, s64                                    // 00000000B4EC: 800C4054
	s_addc_u32 s13, s85, 0                                     // 00000000B4F0: 820D8055
	v_mfma_f32_16x16x32_fp8_fp8 v[28:31], a[2:3], v[14:15], v[28:31]// 00000000B4F4: D3F3001C 0C721D02
	s_add_u32 s16, s86, s65                                    // 00000000B4FC: 80104156
	s_addc_u32 s17, s87, 0                                     // 00000000B500: 82118057
	v_mfma_f32_16x16x32_fp8_fp8 v[28:31], a[4:5], v[16:17], v[28:31]// 00000000B504: D3F3001C 0C722104
	buffer_load_dwordx4 a[32:35], v196, s[12:15], 0 offen      // 00000000B50C: E05C1000 808320C4
	v_mfma_f32_16x16x32_fp8_fp8 v[28:31], a[6:7], v[18:19], v[28:31]// 00000000B514: D3F3001C 0C722506
	s_add_u32 s28, s88, s66                                    // 00000000B51C: 801C4258
	s_addc_u32 s29, s89, 0                                     // 00000000B520: 821D8059
	v_mfma_f32_16x16x32_fp8_fp8 v[32:35], a[8:9], v[12:13], 0  // 00000000B524: D3F30020 0A021908
	s_add_u32 s32, s90, s66                                    // 00000000B52C: 8020425A
	s_addc_u32 s33, s91, 0                                     // 00000000B530: 8221805B
	v_mfma_f32_16x16x32_fp8_fp8 v[32:35], a[10:11], v[14:15], v[32:35]// 00000000B534: D3F30020 0C821D0A
	s_mul_i32 s64, s61, s56                                    // 00000000B53C: 9240383D
	s_mov_b32 s65, s64                                         // 00000000B540: BEC10040
	v_mfma_f32_16x16x32_fp8_fp8 v[32:35], a[12:13], v[16:17], v[32:35]// 00000000B544: D3F30020 0C82210C
	buffer_load_dwordx4 a[36:39], v197, s[12:15], 0 offen      // 00000000B54C: E05C1000 808324C5
	v_mfma_f32_16x16x32_fp8_fp8 v[32:35], a[14:15], v[18:19], v[32:35]// 00000000B554: D3F30020 0C82250E
	s_mul_i32 s66, s61, s58                                    // 00000000B55C: 92423A3D
	v_mfma_f32_16x16x32_fp8_fp8 v[36:39], a[16:17], v[12:13], 0// 00000000B560: D3F30024 0A021910
	v_mfma_f32_16x16x32_fp8_fp8 v[36:39], a[18:19], v[14:15], v[36:39]// 00000000B568: D3F30024 0C921D12
	v_mfma_f32_16x16x32_fp8_fp8 v[36:39], a[20:21], v[16:17], v[36:39]// 00000000B570: D3F30024 0C922114
	buffer_load_dwordx4 a[40:43], v196, s[12:15], 0 offen offset:1024// 00000000B578: E05C1400 808328C4
	v_mfma_f32_16x16x32_fp8_fp8 v[36:39], a[22:23], v[18:19], v[36:39]// 00000000B580: D3F30024 0C922516
	v_mfma_f32_16x16x32_fp8_fp8 v[40:43], a[24:25], v[12:13], 0// 00000000B588: D3F30028 0A021918
	v_mfma_f32_16x16x32_fp8_fp8 v[40:43], a[26:27], v[14:15], v[40:43]// 00000000B590: D3F30028 0CA21D1A
	v_mfma_f32_16x16x32_fp8_fp8 v[40:43], a[28:29], v[16:17], v[40:43]// 00000000B598: D3F30028 0CA2211C
	buffer_load_dwordx4 a[44:47], v197, s[12:15], 0 offen offset:1024// 00000000B5A0: E05C1400 80832CC5
	v_mfma_f32_16x16x32_fp8_fp8 v[40:43], a[30:31], v[18:19], v[40:43]// 00000000B5A8: D3F30028 0CA2251E
	v_mfma_f32_16x16x32_fp8_fp8 v[44:47], a[0:1], v[20:21], 0  // 00000000B5B0: D3F3002C 0A022900
	v_mfma_f32_16x16x32_fp8_fp8 v[44:47], a[2:3], v[22:23], v[44:47]// 00000000B5B8: D3F3002C 0CB22D02
	v_mfma_f32_16x16x32_fp8_fp8 v[44:47], a[4:5], v[24:25], v[44:47]// 00000000B5C0: D3F3002C 0CB23104
	buffer_load_dwordx4 a[48:51], v196, s[12:15], 0 offen offset:2048// 00000000B5C8: E05C1800 808330C4
	v_mfma_f32_16x16x32_fp8_fp8 v[44:47], a[6:7], v[26:27], v[44:47]// 00000000B5D0: D3F3002C 0CB23506
	v_mfma_f32_16x16x32_fp8_fp8 v[48:51], a[8:9], v[20:21], 0  // 00000000B5D8: D3F30030 0A022908
	v_mfma_f32_16x16x32_fp8_fp8 v[48:51], a[10:11], v[22:23], v[48:51]// 00000000B5E0: D3F30030 0CC22D0A
	v_mfma_f32_16x16x32_fp8_fp8 v[48:51], a[12:13], v[24:25], v[48:51]// 00000000B5E8: D3F30030 0CC2310C
	buffer_load_dwordx4 a[52:55], v197, s[12:15], 0 offen offset:2048// 00000000B5F0: E05C1800 808334C5
	v_mfma_f32_16x16x32_fp8_fp8 v[48:51], a[14:15], v[26:27], v[48:51]// 00000000B5F8: D3F30030 0CC2350E
	v_mfma_f32_16x16x32_fp8_fp8 v[52:55], a[16:17], v[20:21], 0// 00000000B600: D3F30034 0A022910
	v_mfma_f32_16x16x32_fp8_fp8 v[52:55], a[18:19], v[22:23], v[52:55]// 00000000B608: D3F30034 0CD22D12
	v_mfma_f32_16x16x32_fp8_fp8 v[52:55], a[20:21], v[24:25], v[52:55]// 00000000B610: D3F30034 0CD23114
	buffer_load_dwordx4 a[56:59], v196, s[12:15], 0 offen offset:3072// 00000000B618: E05C1C00 808338C4
	v_mfma_f32_16x16x32_fp8_fp8 v[52:55], a[22:23], v[26:27], v[52:55]// 00000000B620: D3F30034 0CD23516
	v_mfma_f32_16x16x32_fp8_fp8 v[56:59], a[24:25], v[20:21], 0// 00000000B628: D3F30038 0A022918
	v_mfma_f32_16x16x32_fp8_fp8 v[56:59], a[26:27], v[22:23], v[56:59]// 00000000B630: D3F30038 0CE22D1A
	v_mfma_f32_16x16x32_fp8_fp8 v[56:59], a[28:29], v[24:25], v[56:59]// 00000000B638: D3F30038 0CE2311C
	buffer_load_dwordx4 a[60:63], v197, s[12:15], 0 offen offset:3072// 00000000B640: E05C1C00 80833CC5
	v_mfma_f32_16x16x32_fp8_fp8 v[56:59], a[30:31], v[26:27], v[56:59]// 00000000B648: D3F30038 0CE2351E
	s_waitcnt vmcnt(16)                                        // 00000000B650: BF8C4F70
	v_pk_mul_f32 v[28:29], v[124:125], v[28:29]                // 00000000B654: D3B1401C 1802397C
	v_pk_mul_f32 v[30:31], v[124:125], v[30:31]                // 00000000B65C: D3B1401E 18023D7C
	v_mul_f32_dpp v28, v128, v28 row_newbcast:0 row_mask:0xf bank_mask:0xf// 00000000B664: 0A3838FA FF015080
	v_mul_f32_dpp v29, v128, v29 row_newbcast:1 row_mask:0xf bank_mask:0xf// 00000000B66C: 0A3A3AFA FF015180
	v_mul_f32_dpp v30, v128, v30 row_newbcast:2 row_mask:0xf bank_mask:0xf// 00000000B674: 0A3C3CFA FF015280
	v_mul_f32_dpp v31, v128, v31 row_newbcast:3 row_mask:0xf bank_mask:0xf// 00000000B67C: 0A3E3EFA FF015380
	v_pk_mul_f32 v[32:33], v[124:125], v[32:33]                // 00000000B684: D3B14020 1802417C
	v_pk_mul_f32 v[34:35], v[124:125], v[34:35]                // 00000000B68C: D3B14022 1802457C
	v_mul_f32_dpp v32, v128, v32 row_newbcast:4 row_mask:0xf bank_mask:0xf// 00000000B694: 0A4040FA FF015480
	v_mul_f32_dpp v33, v128, v33 row_newbcast:5 row_mask:0xf bank_mask:0xf// 00000000B69C: 0A4242FA FF015580
	v_mul_f32_dpp v34, v128, v34 row_newbcast:6 row_mask:0xf bank_mask:0xf// 00000000B6A4: 0A4444FA FF015680
	v_mul_f32_dpp v35, v128, v35 row_newbcast:7 row_mask:0xf bank_mask:0xf// 00000000B6AC: 0A4646FA FF015780
	v_pk_mul_f32 v[36:37], v[124:125], v[36:37]                // 00000000B6B4: D3B14024 1802497C
	v_pk_mul_f32 v[38:39], v[124:125], v[38:39]                // 00000000B6BC: D3B14026 18024D7C
	v_mul_f32_dpp v36, v128, v36 row_newbcast:8 row_mask:0xf bank_mask:0xf// 00000000B6C4: 0A4848FA FF015880
	v_mul_f32_dpp v37, v128, v37 row_newbcast:9 row_mask:0xf bank_mask:0xf// 00000000B6CC: 0A4A4AFA FF015980
	v_mul_f32_dpp v38, v128, v38 row_newbcast:10 row_mask:0xf bank_mask:0xf// 00000000B6D4: 0A4C4CFA FF015A80
	v_mul_f32_dpp v39, v128, v39 row_newbcast:11 row_mask:0xf bank_mask:0xf// 00000000B6DC: 0A4E4EFA FF015B80
	v_pk_mul_f32 v[40:41], v[124:125], v[40:41]                // 00000000B6E4: D3B14028 1802517C
	v_pk_mul_f32 v[42:43], v[124:125], v[42:43]                // 00000000B6EC: D3B1402A 1802557C
	v_mul_f32_dpp v40, v128, v40 row_newbcast:12 row_mask:0xf bank_mask:0xf// 00000000B6F4: 0A5050FA FF015C80
	v_mul_f32_dpp v41, v128, v41 row_newbcast:13 row_mask:0xf bank_mask:0xf// 00000000B6FC: 0A5252FA FF015D80
	v_mul_f32_dpp v42, v128, v42 row_newbcast:14 row_mask:0xf bank_mask:0xf// 00000000B704: 0A5454FA FF015E80
	v_mul_f32_dpp v43, v128, v43 row_newbcast:15 row_mask:0xf bank_mask:0xf// 00000000B70C: 0A5656FA FF015F80
	v_pk_mul_f32 v[44:45], v[126:127], v[44:45]                // 00000000B714: D3B1402C 1802597E
	v_pk_mul_f32 v[46:47], v[126:127], v[46:47]                // 00000000B71C: D3B1402E 18025D7E
	v_mul_f32_dpp v44, v128, v44 row_newbcast:0 row_mask:0xf bank_mask:0xf// 00000000B724: 0A5858FA FF015080
	v_mul_f32_dpp v45, v128, v45 row_newbcast:1 row_mask:0xf bank_mask:0xf// 00000000B72C: 0A5A5AFA FF015180
	v_mul_f32_dpp v46, v128, v46 row_newbcast:2 row_mask:0xf bank_mask:0xf// 00000000B734: 0A5C5CFA FF015280
	v_mul_f32_dpp v47, v128, v47 row_newbcast:3 row_mask:0xf bank_mask:0xf// 00000000B73C: 0A5E5EFA FF015380
	v_pk_mul_f32 v[48:49], v[126:127], v[48:49]                // 00000000B744: D3B14030 1802617E
	v_pk_mul_f32 v[50:51], v[126:127], v[50:51]                // 00000000B74C: D3B14032 1802657E
	v_mul_f32_dpp v48, v128, v48 row_newbcast:4 row_mask:0xf bank_mask:0xf// 00000000B754: 0A6060FA FF015480
	v_mul_f32_dpp v49, v128, v49 row_newbcast:5 row_mask:0xf bank_mask:0xf// 00000000B75C: 0A6262FA FF015580
	v_mul_f32_dpp v50, v128, v50 row_newbcast:6 row_mask:0xf bank_mask:0xf// 00000000B764: 0A6464FA FF015680
	v_mul_f32_dpp v51, v128, v51 row_newbcast:7 row_mask:0xf bank_mask:0xf// 00000000B76C: 0A6666FA FF015780
	v_pk_mul_f32 v[52:53], v[126:127], v[52:53]                // 00000000B774: D3B14034 1802697E
	v_pk_mul_f32 v[54:55], v[126:127], v[54:55]                // 00000000B77C: D3B14036 18026D7E
	v_mul_f32_dpp v52, v128, v52 row_newbcast:8 row_mask:0xf bank_mask:0xf// 00000000B784: 0A6868FA FF015880
	v_mul_f32_dpp v53, v128, v53 row_newbcast:9 row_mask:0xf bank_mask:0xf// 00000000B78C: 0A6A6AFA FF015980
	v_mul_f32_dpp v54, v128, v54 row_newbcast:10 row_mask:0xf bank_mask:0xf// 00000000B794: 0A6C6CFA FF015A80
	v_mul_f32_dpp v55, v128, v55 row_newbcast:11 row_mask:0xf bank_mask:0xf// 00000000B79C: 0A6E6EFA FF015B80
	v_pk_mul_f32 v[56:57], v[126:127], v[56:57]                // 00000000B7A4: D3B14038 1802717E
	v_pk_mul_f32 v[58:59], v[126:127], v[58:59]                // 00000000B7AC: D3B1403A 1802757E
	v_mul_f32_dpp v56, v128, v56 row_newbcast:12 row_mask:0xf bank_mask:0xf// 00000000B7B4: 0A7070FA FF015C80
	v_mul_f32_dpp v57, v128, v57 row_newbcast:13 row_mask:0xf bank_mask:0xf// 00000000B7BC: 0A7272FA FF015D80
	v_mul_f32_dpp v58, v128, v58 row_newbcast:14 row_mask:0xf bank_mask:0xf// 00000000B7C4: 0A7474FA FF015E80
	v_mul_f32_dpp v59, v128, v59 row_newbcast:15 row_mask:0xf bank_mask:0xf// 00000000B7CC: 0A7676FA FF015F80
	v_add_u32_e32 v180, s49, v190                              // 00000000B7D4: 69697C31
	v_add_u32_e32 v181, 0, v180                                // 00000000B7D8: 696B6880
	v_cmp_lt_u32_e64 s[92:93], v181, v188                      // 00000000B7DC: D0C9005C 000379B5
	s_nop 0                                                    // 00000000B7E4: BF800000
	v_cndmask_b32_e64 v28, v191, v28, s[92:93]                 // 00000000B7E8: D100001C 017239BF
	v_add_u32_e32 v181, 1, v180                                // 00000000B7F0: 696B6881
	v_cmp_lt_u32_e64 s[92:93], v181, v188                      // 00000000B7F4: D0C9005C 000379B5
	s_nop 0                                                    // 00000000B7FC: BF800000
	v_cndmask_b32_e64 v29, v191, v29, s[92:93]                 // 00000000B800: D100001D 01723BBF
	v_add_u32_e32 v181, 2, v180                                // 00000000B808: 696B6882
	v_cmp_lt_u32_e64 s[92:93], v181, v188                      // 00000000B80C: D0C9005C 000379B5
	s_nop 0                                                    // 00000000B814: BF800000
	v_cndmask_b32_e64 v30, v191, v30, s[92:93]                 // 00000000B818: D100001E 01723DBF
	v_add_u32_e32 v181, 3, v180                                // 00000000B820: 696B6883
	v_cmp_lt_u32_e64 s[92:93], v181, v188                      // 00000000B824: D0C9005C 000379B5
	s_nop 0                                                    // 00000000B82C: BF800000
	v_cndmask_b32_e64 v31, v191, v31, s[92:93]                 // 00000000B830: D100001F 01723FBF
	v_add_u32_e32 v181, 64, v180                               // 00000000B838: 696B68C0
	v_cmp_lt_u32_e64 s[92:93], v181, v188                      // 00000000B83C: D0C9005C 000379B5
	s_nop 0                                                    // 00000000B844: BF800000
	v_cndmask_b32_e64 v32, v191, v32, s[92:93]                 // 00000000B848: D1000020 017241BF
	v_add_u32_e32 v181, 0x41, v180                             // 00000000B850: 696B68FF 00000041
	v_cmp_lt_u32_e64 s[92:93], v181, v188                      // 00000000B858: D0C9005C 000379B5
	s_nop 0                                                    // 00000000B860: BF800000
	v_cndmask_b32_e64 v33, v191, v33, s[92:93]                 // 00000000B864: D1000021 017243BF
	v_add_u32_e32 v181, 0x42, v180                             // 00000000B86C: 696B68FF 00000042
	v_cmp_lt_u32_e64 s[92:93], v181, v188                      // 00000000B874: D0C9005C 000379B5
	s_nop 0                                                    // 00000000B87C: BF800000
	v_cndmask_b32_e64 v34, v191, v34, s[92:93]                 // 00000000B880: D1000022 017245BF
	v_add_u32_e32 v181, 0x43, v180                             // 00000000B888: 696B68FF 00000043
	v_cmp_lt_u32_e64 s[92:93], v181, v188                      // 00000000B890: D0C9005C 000379B5
	s_nop 0                                                    // 00000000B898: BF800000
	v_cndmask_b32_e64 v35, v191, v35, s[92:93]                 // 00000000B89C: D1000023 017247BF
	v_add_u32_e32 v181, 0x80, v180                             // 00000000B8A4: 696B68FF 00000080
	v_cmp_lt_u32_e64 s[92:93], v181, v188                      // 00000000B8AC: D0C9005C 000379B5
	s_nop 0                                                    // 00000000B8B4: BF800000
	v_cndmask_b32_e64 v36, v191, v36, s[92:93]                 // 00000000B8B8: D1000024 017249BF
	v_add_u32_e32 v181, 0x81, v180                             // 00000000B8C0: 696B68FF 00000081
	v_cmp_lt_u32_e64 s[92:93], v181, v188                      // 00000000B8C8: D0C9005C 000379B5
	s_nop 0                                                    // 00000000B8D0: BF800000
	v_cndmask_b32_e64 v37, v191, v37, s[92:93]                 // 00000000B8D4: D1000025 01724BBF
	v_add_u32_e32 v181, 0x82, v180                             // 00000000B8DC: 696B68FF 00000082
	v_cmp_lt_u32_e64 s[92:93], v181, v188                      // 00000000B8E4: D0C9005C 000379B5
	s_nop 0                                                    // 00000000B8EC: BF800000
	v_cndmask_b32_e64 v38, v191, v38, s[92:93]                 // 00000000B8F0: D1000026 01724DBF
	v_add_u32_e32 v181, 0x83, v180                             // 00000000B8F8: 696B68FF 00000083
	v_cmp_lt_u32_e64 s[92:93], v181, v188                      // 00000000B900: D0C9005C 000379B5
	s_nop 0                                                    // 00000000B908: BF800000
	v_cndmask_b32_e64 v39, v191, v39, s[92:93]                 // 00000000B90C: D1000027 01724FBF
	v_add_u32_e32 v181, 0xc0, v180                             // 00000000B914: 696B68FF 000000C0
	v_cmp_lt_u32_e64 s[92:93], v181, v188                      // 00000000B91C: D0C9005C 000379B5
	s_nop 0                                                    // 00000000B924: BF800000
	v_cndmask_b32_e64 v40, v191, v40, s[92:93]                 // 00000000B928: D1000028 017251BF
	v_add_u32_e32 v181, 0xc1, v180                             // 00000000B930: 696B68FF 000000C1
	v_cmp_lt_u32_e64 s[92:93], v181, v188                      // 00000000B938: D0C9005C 000379B5
	s_nop 0                                                    // 00000000B940: BF800000
	v_cndmask_b32_e64 v41, v191, v41, s[92:93]                 // 00000000B944: D1000029 017253BF
	v_add_u32_e32 v181, 0xc2, v180                             // 00000000B94C: 696B68FF 000000C2
	v_cmp_lt_u32_e64 s[92:93], v181, v188                      // 00000000B954: D0C9005C 000379B5
	s_nop 0                                                    // 00000000B95C: BF800000
	v_cndmask_b32_e64 v42, v191, v42, s[92:93]                 // 00000000B960: D100002A 017255BF
	v_add_u32_e32 v181, 0xc3, v180                             // 00000000B968: 696B68FF 000000C3
	v_cmp_lt_u32_e64 s[92:93], v181, v188                      // 00000000B970: D0C9005C 000379B5
	s_nop 0                                                    // 00000000B978: BF800000
	v_cndmask_b32_e64 v43, v191, v43, s[92:93]                 // 00000000B97C: D100002B 017257BF
	v_add_u32_e32 v181, 0, v180                                // 00000000B984: 696B6880
	v_cmp_lt_u32_e64 s[92:93], v181, v189                      // 00000000B988: D0C9005C 00037BB5
	s_nop 0                                                    // 00000000B990: BF800000
	v_cndmask_b32_e64 v44, v191, v44, s[92:93]                 // 00000000B994: D100002C 017259BF
	v_add_u32_e32 v181, 1, v180                                // 00000000B99C: 696B6881
	v_cmp_lt_u32_e64 s[92:93], v181, v189                      // 00000000B9A0: D0C9005C 00037BB5
	s_nop 0                                                    // 00000000B9A8: BF800000
	v_cndmask_b32_e64 v45, v191, v45, s[92:93]                 // 00000000B9AC: D100002D 01725BBF
	v_add_u32_e32 v181, 2, v180                                // 00000000B9B4: 696B6882
	v_cmp_lt_u32_e64 s[92:93], v181, v189                      // 00000000B9B8: D0C9005C 00037BB5
	s_nop 0                                                    // 00000000B9C0: BF800000
	v_cndmask_b32_e64 v46, v191, v46, s[92:93]                 // 00000000B9C4: D100002E 01725DBF
	v_add_u32_e32 v181, 3, v180                                // 00000000B9CC: 696B6883
	v_cmp_lt_u32_e64 s[92:93], v181, v189                      // 00000000B9D0: D0C9005C 00037BB5
	s_nop 0                                                    // 00000000B9D8: BF800000
	v_cndmask_b32_e64 v47, v191, v47, s[92:93]                 // 00000000B9DC: D100002F 01725FBF
	v_add_u32_e32 v181, 64, v180                               // 00000000B9E4: 696B68C0
	v_cmp_lt_u32_e64 s[92:93], v181, v189                      // 00000000B9E8: D0C9005C 00037BB5
	s_nop 0                                                    // 00000000B9F0: BF800000
	v_cndmask_b32_e64 v48, v191, v48, s[92:93]                 // 00000000B9F4: D1000030 017261BF
	v_add_u32_e32 v181, 0x41, v180                             // 00000000B9FC: 696B68FF 00000041
	v_cmp_lt_u32_e64 s[92:93], v181, v189                      // 00000000BA04: D0C9005C 00037BB5
	s_nop 0                                                    // 00000000BA0C: BF800000
	v_cndmask_b32_e64 v49, v191, v49, s[92:93]                 // 00000000BA10: D1000031 017263BF
	v_add_u32_e32 v181, 0x42, v180                             // 00000000BA18: 696B68FF 00000042
	v_cmp_lt_u32_e64 s[92:93], v181, v189                      // 00000000BA20: D0C9005C 00037BB5
	s_nop 0                                                    // 00000000BA28: BF800000
	v_cndmask_b32_e64 v50, v191, v50, s[92:93]                 // 00000000BA2C: D1000032 017265BF
	v_add_u32_e32 v181, 0x43, v180                             // 00000000BA34: 696B68FF 00000043
	v_cmp_lt_u32_e64 s[92:93], v181, v189                      // 00000000BA3C: D0C9005C 00037BB5
	s_nop 0                                                    // 00000000BA44: BF800000
	v_cndmask_b32_e64 v51, v191, v51, s[92:93]                 // 00000000BA48: D1000033 017267BF
	v_add_u32_e32 v181, 0x80, v180                             // 00000000BA50: 696B68FF 00000080
	v_cmp_lt_u32_e64 s[92:93], v181, v189                      // 00000000BA58: D0C9005C 00037BB5
	s_nop 0                                                    // 00000000BA60: BF800000
	v_cndmask_b32_e64 v52, v191, v52, s[92:93]                 // 00000000BA64: D1000034 017269BF
	v_add_u32_e32 v181, 0x81, v180                             // 00000000BA6C: 696B68FF 00000081
	v_cmp_lt_u32_e64 s[92:93], v181, v189                      // 00000000BA74: D0C9005C 00037BB5
	s_nop 0                                                    // 00000000BA7C: BF800000
	v_cndmask_b32_e64 v53, v191, v53, s[92:93]                 // 00000000BA80: D1000035 01726BBF
	v_add_u32_e32 v181, 0x82, v180                             // 00000000BA88: 696B68FF 00000082
	v_cmp_lt_u32_e64 s[92:93], v181, v189                      // 00000000BA90: D0C9005C 00037BB5
	s_nop 0                                                    // 00000000BA98: BF800000
	v_cndmask_b32_e64 v54, v191, v54, s[92:93]                 // 00000000BA9C: D1000036 01726DBF
	v_add_u32_e32 v181, 0x83, v180                             // 00000000BAA4: 696B68FF 00000083
	v_cmp_lt_u32_e64 s[92:93], v181, v189                      // 00000000BAAC: D0C9005C 00037BB5
	s_nop 0                                                    // 00000000BAB4: BF800000
	v_cndmask_b32_e64 v55, v191, v55, s[92:93]                 // 00000000BAB8: D1000037 01726FBF
	v_add_u32_e32 v181, 0xc0, v180                             // 00000000BAC0: 696B68FF 000000C0
	v_cmp_lt_u32_e64 s[92:93], v181, v189                      // 00000000BAC8: D0C9005C 00037BB5
	s_nop 0                                                    // 00000000BAD0: BF800000
	v_cndmask_b32_e64 v56, v191, v56, s[92:93]                 // 00000000BAD4: D1000038 017271BF
	v_add_u32_e32 v181, 0xc1, v180                             // 00000000BADC: 696B68FF 000000C1
	v_cmp_lt_u32_e64 s[92:93], v181, v189                      // 00000000BAE4: D0C9005C 00037BB5
	s_nop 0                                                    // 00000000BAEC: BF800000
	v_cndmask_b32_e64 v57, v191, v57, s[92:93]                 // 00000000BAF0: D1000039 017273BF
	v_add_u32_e32 v181, 0xc2, v180                             // 00000000BAF8: 696B68FF 000000C2
	v_cmp_lt_u32_e64 s[92:93], v181, v189                      // 00000000BB00: D0C9005C 00037BB5
	s_nop 0                                                    // 00000000BB08: BF800000
	v_cndmask_b32_e64 v58, v191, v58, s[92:93]                 // 00000000BB0C: D100003A 017275BF
	v_add_u32_e32 v181, 0xc3, v180                             // 00000000BB14: 696B68FF 000000C3
	v_cmp_lt_u32_e64 s[92:93], v181, v189                      // 00000000BB1C: D0C9005C 00037BB5
	s_nop 0                                                    // 00000000BB24: BF800000
	v_cndmask_b32_e64 v59, v191, v59, s[92:93]                 // 00000000BB28: D100003B 017277BF
	v_mov_b32_e32 v146, v28                                    // 00000000BB30: 7F24031C
	v_max3_f32 v146, v28, v29, v146                            // 00000000BB34: D1D30092 064A3B1C
	v_max3_f32 v146, v30, v31, v146                            // 00000000BB3C: D1D30092 064A3F1E
	v_max3_f32 v146, v32, v33, v146                            // 00000000BB44: D1D30092 064A4320
	v_max3_f32 v146, v34, v35, v146                            // 00000000BB4C: D1D30092 064A4722
	v_max3_f32 v146, v36, v37, v146                            // 00000000BB54: D1D30092 064A4B24
	v_max3_f32 v146, v38, v39, v146                            // 00000000BB5C: D1D30092 064A4F26
	v_max3_f32 v146, v40, v41, v146                            // 00000000BB64: D1D30092 064A5328
	v_max3_f32 v146, v42, v43, v146                            // 00000000BB6C: D1D30092 064A572A
	v_mov_b32_e32 v147, v44                                    // 00000000BB74: 7F26032C
	v_max3_f32 v147, v44, v45, v147                            // 00000000BB78: D1D30093 064E5B2C
	v_max3_f32 v147, v46, v47, v147                            // 00000000BB80: D1D30093 064E5F2E
	v_max3_f32 v147, v48, v49, v147                            // 00000000BB88: D1D30093 064E6330
	v_max3_f32 v147, v50, v51, v147                            // 00000000BB90: D1D30093 064E6732
	v_max3_f32 v147, v52, v53, v147                            // 00000000BB98: D1D30093 064E6B34
	v_max3_f32 v147, v54, v55, v147                            // 00000000BBA0: D1D30093 064E6F36
	v_max3_f32 v147, v56, v57, v147                            // 00000000BBA8: D1D30093 064E7338
	v_max3_f32 v147, v58, v59, v147                            // 00000000BBB0: D1D30093 064E773A
	ds_write_b64 v210, v[146:147]                              // 00000000BBB8: D89A0000 000092D2
	v_pk_mul_f32 v[108:109], v[140:141], v[108:109]            // 00000000BBC0: D3B1406C 1802D98C
	v_pk_mul_f32 v[110:111], v[140:141], v[110:111]            // 00000000BBC8: D3B1406E 1802DD8C
	v_pk_mul_f32 v[112:113], v[140:141], v[112:113]            // 00000000BBD0: D3B14070 1802E18C
	v_pk_mul_f32 v[114:115], v[140:141], v[114:115]            // 00000000BBD8: D3B14072 1802E58C
	v_pk_mul_f32 v[116:117], v[142:143], v[116:117]            // 00000000BBE0: D3B14074 1802E98E
	v_pk_mul_f32 v[118:119], v[142:143], v[118:119]            // 00000000BBE8: D3B14076 1802ED8E
	v_pk_mul_f32 v[120:121], v[142:143], v[120:121]            // 00000000BBF0: D3B14078 1802F18E
	v_pk_mul_f32 v[122:123], v[142:143], v[122:123]            // 00000000BBF8: D3B1407A 1802F58E
	s_waitcnt lgkmcnt(0)                                       // 00000000BC00: BF8CC07F
	s_barrier                                                  // 00000000BC04: BF8A0000
	ds_read_b64 v[148:149], v211                               // 00000000BC08: D8EC0000 940000D3
	ds_read_b64 v[150:151], v211 offset:128                    // 00000000BC10: D8EC0080 960000D3
	ds_read_b64 v[152:153], v211 offset:256                    // 00000000BC18: D8EC0100 980000D3
	ds_read_b64 v[154:155], v211 offset:384                    // 00000000BC20: D8EC0180 9A0000D3
	ds_read_b64 v[156:157], v211 offset:512                    // 00000000BC28: D8EC0200 9C0000D3
	ds_read_b64 v[158:159], v211 offset:640                    // 00000000BC30: D8EC0280 9E0000D3
	ds_read_b64 v[160:161], v211 offset:768                    // 00000000BC38: D8EC0300 A00000D3
	ds_read_b64 v[162:163], v211 offset:896                    // 00000000BC40: D8EC0380 A20000D3
	ds_read_b64 v[164:165], v211 offset:1024                   // 00000000BC48: D8EC0400 A40000D3
	ds_read_b64 v[166:167], v211 offset:1152                   // 00000000BC50: D8EC0480 A60000D3
	ds_read_b64 v[168:169], v211 offset:1280                   // 00000000BC58: D8EC0500 A80000D3
	ds_read_b64 v[170:171], v211 offset:1408                   // 00000000BC60: D8EC0580 AA0000D3
	ds_read_b64 v[172:173], v211 offset:1536                   // 00000000BC68: D8EC0600 AC0000D3
	ds_read_b64 v[174:175], v211 offset:1664                   // 00000000BC70: D8EC0680 AE0000D3
	ds_read_b64 v[176:177], v211 offset:1792                   // 00000000BC78: D8EC0700 B00000D3
	ds_read_b64 v[178:179], v211 offset:1920                   // 00000000BC80: D8EC0780 B20000D3
	v_pk_mul_f32 v[92:93], v[132:133], v[92:93]                // 00000000BC88: D3B1405C 1802B984
	v_pk_mul_f32 v[94:95], v[132:133], v[94:95]                // 00000000BC90: D3B1405E 1802BD84
	v_pk_mul_f32 v[96:97], v[132:133], v[96:97]                // 00000000BC98: D3B14060 1802C184
	v_pk_mul_f32 v[98:99], v[132:133], v[98:99]                // 00000000BCA0: D3B14062 1802C584
	v_pk_mul_f32 v[100:101], v[134:135], v[100:101]            // 00000000BCA8: D3B14064 1802C986
	v_pk_mul_f32 v[102:103], v[134:135], v[102:103]            // 00000000BCB0: D3B14066 1802CD86
	v_pk_mul_f32 v[104:105], v[134:135], v[104:105]            // 00000000BCB8: D3B14068 1802D186
	v_pk_mul_f32 v[106:107], v[134:135], v[106:107]            // 00000000BCC0: D3B1406A 1802D586
	s_waitcnt lgkmcnt(0)                                       // 00000000BCC8: BF8CC07F
	v_max3_f32 v146, v148, v150, v146                          // 00000000BCCC: D1D30092 064B2D94
	v_max3_f32 v147, v149, v151, v147                          // 00000000BCD4: D1D30093 064F2F95
	v_max3_f32 v146, v152, v154, v146                          // 00000000BCDC: D1D30092 064B3598
	v_max3_f32 v147, v153, v155, v147                          // 00000000BCE4: D1D30093 064F3799
	v_max3_f32 v146, v156, v158, v146                          // 00000000BCEC: D1D30092 064B3D9C
	v_max3_f32 v147, v157, v159, v147                          // 00000000BCF4: D1D30093 064F3F9D
	v_max3_f32 v146, v160, v162, v146                          // 00000000BCFC: D1D30092 064B45A0
	v_max3_f32 v147, v161, v163, v147                          // 00000000BD04: D1D30093 064F47A1
	v_max3_f32 v146, v164, v166, v146                          // 00000000BD0C: D1D30092 064B4DA4
	v_max3_f32 v147, v165, v167, v147                          // 00000000BD14: D1D30093 064F4FA5
	v_max3_f32 v146, v168, v170, v146                          // 00000000BD1C: D1D30092 064B55A8
	v_max3_f32 v147, v169, v171, v147                          // 00000000BD24: D1D30093 064F57A9
	v_max3_f32 v146, v172, v174, v146                          // 00000000BD2C: D1D30092 064B5DAC
	v_max3_f32 v147, v173, v175, v147                          // 00000000BD34: D1D30093 064F5FAD
	v_max3_f32 v146, v176, v178, v146                          // 00000000BD3C: D1D30092 064B65B0
	v_max3_f32 v147, v177, v179, v147                          // 00000000BD44: D1D30093 064F67B1
	v_max_f32_e32 v138, v146, v136                             // 00000000BD4C: 17151192
	v_mul_f32_e64 v180, -s51, v138                             // 00000000BD50: D10500B4 20031433
	v_mov_b32_e32 v181, v180                                   // 00000000BD58: 7F6A03B4
	v_pk_fma_f32 v[28:29], v[28:29], s[68:69], v[180:181]      // 00000000BD5C: D3B0401C 1ED0891C
	v_pk_fma_f32 v[30:31], v[30:31], s[68:69], v[180:181]      // 00000000BD64: D3B0401E 1ED0891E
	v_exp_f32_e32 v28, v28                                     // 00000000BD6C: 7E38411C
	v_exp_f32_e32 v29, v29                                     // 00000000BD70: 7E3A411D
	v_exp_f32_e32 v30, v30                                     // 00000000BD74: 7E3C411E
	v_exp_f32_e32 v31, v31                                     // 00000000BD78: 7E3E411F
	v_pk_fma_f32 v[32:33], v[32:33], s[68:69], v[180:181]      // 00000000BD7C: D3B04020 1ED08920
	v_pk_fma_f32 v[34:35], v[34:35], s[68:69], v[180:181]      // 00000000BD84: D3B04022 1ED08922
	v_exp_f32_e32 v32, v32                                     // 00000000BD8C: 7E404120
	v_exp_f32_e32 v33, v33                                     // 00000000BD90: 7E424121
	v_exp_f32_e32 v34, v34                                     // 00000000BD94: 7E444122
	v_exp_f32_e32 v35, v35                                     // 00000000BD98: 7E464123
	v_pk_fma_f32 v[36:37], v[36:37], s[68:69], v[180:181]      // 00000000BD9C: D3B04024 1ED08924
	v_pk_fma_f32 v[38:39], v[38:39], s[68:69], v[180:181]      // 00000000BDA4: D3B04026 1ED08926
	v_exp_f32_e32 v36, v36                                     // 00000000BDAC: 7E484124
	v_exp_f32_e32 v37, v37                                     // 00000000BDB0: 7E4A4125
	v_exp_f32_e32 v38, v38                                     // 00000000BDB4: 7E4C4126
	v_exp_f32_e32 v39, v39                                     // 00000000BDB8: 7E4E4127
	v_pk_fma_f32 v[40:41], v[40:41], s[68:69], v[180:181]      // 00000000BDBC: D3B04028 1ED08928
	v_pk_fma_f32 v[42:43], v[42:43], s[68:69], v[180:181]      // 00000000BDC4: D3B0402A 1ED0892A
	v_exp_f32_e32 v40, v40                                     // 00000000BDCC: 7E504128
	v_exp_f32_e32 v41, v41                                     // 00000000BDD0: 7E524129
	v_exp_f32_e32 v42, v42                                     // 00000000BDD4: 7E54412A
	v_exp_f32_e32 v43, v43                                     // 00000000BDD8: 7E56412B
	v_max_f32_e32 v139, v147, v137                             // 00000000BDDC: 17171393
	v_mul_f32_e64 v180, -s51, v139                             // 00000000BDE0: D10500B4 20031633
	v_mov_b32_e32 v181, v180                                   // 00000000BDE8: 7F6A03B4
	v_pk_fma_f32 v[44:45], v[44:45], s[68:69], v[180:181]      // 00000000BDEC: D3B0402C 1ED0892C
	v_pk_fma_f32 v[46:47], v[46:47], s[68:69], v[180:181]      // 00000000BDF4: D3B0402E 1ED0892E
	v_exp_f32_e32 v44, v44                                     // 00000000BDFC: 7E58412C
	v_exp_f32_e32 v45, v45                                     // 00000000BE00: 7E5A412D
	v_exp_f32_e32 v46, v46                                     // 00000000BE04: 7E5C412E
	v_exp_f32_e32 v47, v47                                     // 00000000BE08: 7E5E412F
	v_pk_fma_f32 v[48:49], v[48:49], s[68:69], v[180:181]      // 00000000BE0C: D3B04030 1ED08930
	v_pk_fma_f32 v[50:51], v[50:51], s[68:69], v[180:181]      // 00000000BE14: D3B04032 1ED08932
	v_exp_f32_e32 v48, v48                                     // 00000000BE1C: 7E604130
	v_exp_f32_e32 v49, v49                                     // 00000000BE20: 7E624131
	v_exp_f32_e32 v50, v50                                     // 00000000BE24: 7E644132
	v_exp_f32_e32 v51, v51                                     // 00000000BE28: 7E664133
	v_pk_fma_f32 v[52:53], v[52:53], s[68:69], v[180:181]      // 00000000BE2C: D3B04034 1ED08934
	v_pk_fma_f32 v[54:55], v[54:55], s[68:69], v[180:181]      // 00000000BE34: D3B04036 1ED08936
	v_exp_f32_e32 v52, v52                                     // 00000000BE3C: 7E684134
	v_exp_f32_e32 v53, v53                                     // 00000000BE40: 7E6A4135
	v_exp_f32_e32 v54, v54                                     // 00000000BE44: 7E6C4136
	v_exp_f32_e32 v55, v55                                     // 00000000BE48: 7E6E4137
	v_pk_fma_f32 v[56:57], v[56:57], s[68:69], v[180:181]      // 00000000BE4C: D3B04038 1ED08938
	v_pk_fma_f32 v[58:59], v[58:59], s[68:69], v[180:181]      // 00000000BE54: D3B0403A 1ED0893A
	v_exp_f32_e32 v56, v56                                     // 00000000BE5C: 7E704138
	v_exp_f32_e32 v57, v57                                     // 00000000BE60: 7E724139
	v_exp_f32_e32 v58, v58                                     // 00000000BE64: 7E74413A
	v_exp_f32_e32 v59, v59                                     // 00000000BE68: 7E76413B
	v_mul_f32_dpp v60, v130, v28 row_newbcast:0 row_mask:0xf bank_mask:0xf// 00000000BE6C: 0A7838FA FF015082
	v_mul_f32_dpp v61, v130, v29 row_newbcast:1 row_mask:0xf bank_mask:0xf// 00000000BE74: 0A7A3AFA FF015182
	v_mul_f32_dpp v62, v130, v30 row_newbcast:2 row_mask:0xf bank_mask:0xf// 00000000BE7C: 0A7C3CFA FF015282
	v_mul_f32_dpp v63, v130, v31 row_newbcast:3 row_mask:0xf bank_mask:0xf// 00000000BE84: 0A7E3EFA FF015382
	v_mul_f32_dpp v64, v130, v32 row_newbcast:4 row_mask:0xf bank_mask:0xf// 00000000BE8C: 0A8040FA FF015482
	v_mul_f32_dpp v65, v130, v33 row_newbcast:5 row_mask:0xf bank_mask:0xf// 00000000BE94: 0A8242FA FF015582
	v_mul_f32_dpp v66, v130, v34 row_newbcast:6 row_mask:0xf bank_mask:0xf// 00000000BE9C: 0A8444FA FF015682
	v_mul_f32_dpp v67, v130, v35 row_newbcast:7 row_mask:0xf bank_mask:0xf// 00000000BEA4: 0A8646FA FF015782
	v_mul_f32_dpp v68, v130, v36 row_newbcast:8 row_mask:0xf bank_mask:0xf// 00000000BEAC: 0A8848FA FF015882
	v_mul_f32_dpp v69, v130, v37 row_newbcast:9 row_mask:0xf bank_mask:0xf// 00000000BEB4: 0A8A4AFA FF015982
	v_mul_f32_dpp v70, v130, v38 row_newbcast:10 row_mask:0xf bank_mask:0xf// 00000000BEBC: 0A8C4CFA FF015A82
	v_mul_f32_dpp v71, v130, v39 row_newbcast:11 row_mask:0xf bank_mask:0xf// 00000000BEC4: 0A8E4EFA FF015B82
	v_mul_f32_dpp v72, v130, v40 row_newbcast:12 row_mask:0xf bank_mask:0xf// 00000000BECC: 0A9050FA FF015C82
	v_mul_f32_dpp v73, v130, v41 row_newbcast:13 row_mask:0xf bank_mask:0xf// 00000000BED4: 0A9252FA FF015D82
	v_mul_f32_dpp v74, v130, v42 row_newbcast:14 row_mask:0xf bank_mask:0xf// 00000000BEDC: 0A9454FA FF015E82
	v_mul_f32_dpp v75, v130, v43 row_newbcast:15 row_mask:0xf bank_mask:0xf// 00000000BEE4: 0A9656FA FF015F82
	v_mul_f32_dpp v76, v130, v44 row_newbcast:0 row_mask:0xf bank_mask:0xf// 00000000BEEC: 0A9858FA FF015082
	v_mul_f32_dpp v77, v130, v45 row_newbcast:1 row_mask:0xf bank_mask:0xf// 00000000BEF4: 0A9A5AFA FF015182
	v_mul_f32_dpp v78, v130, v46 row_newbcast:2 row_mask:0xf bank_mask:0xf// 00000000BEFC: 0A9C5CFA FF015282
	v_mul_f32_dpp v79, v130, v47 row_newbcast:3 row_mask:0xf bank_mask:0xf// 00000000BF04: 0A9E5EFA FF015382
	v_mul_f32_dpp v80, v130, v48 row_newbcast:4 row_mask:0xf bank_mask:0xf// 00000000BF0C: 0AA060FA FF015482
	v_mul_f32_dpp v81, v130, v49 row_newbcast:5 row_mask:0xf bank_mask:0xf// 00000000BF14: 0AA262FA FF015582
	v_mul_f32_dpp v82, v130, v50 row_newbcast:6 row_mask:0xf bank_mask:0xf// 00000000BF1C: 0AA464FA FF015682
	v_mul_f32_dpp v83, v130, v51 row_newbcast:7 row_mask:0xf bank_mask:0xf// 00000000BF24: 0AA666FA FF015782
	v_mul_f32_dpp v84, v130, v52 row_newbcast:8 row_mask:0xf bank_mask:0xf// 00000000BF2C: 0AA868FA FF015882
	v_mul_f32_dpp v85, v130, v53 row_newbcast:9 row_mask:0xf bank_mask:0xf// 00000000BF34: 0AAA6AFA FF015982
	v_mul_f32_dpp v86, v130, v54 row_newbcast:10 row_mask:0xf bank_mask:0xf// 00000000BF3C: 0AAC6CFA FF015A82
	v_mul_f32_dpp v87, v130, v55 row_newbcast:11 row_mask:0xf bank_mask:0xf// 00000000BF44: 0AAE6EFA FF015B82
	v_mul_f32_dpp v88, v130, v56 row_newbcast:12 row_mask:0xf bank_mask:0xf// 00000000BF4C: 0AB070FA FF015C82
	v_mul_f32_dpp v89, v130, v57 row_newbcast:13 row_mask:0xf bank_mask:0xf// 00000000BF54: 0AB272FA FF015D82
	v_mul_f32_dpp v90, v130, v58 row_newbcast:14 row_mask:0xf bank_mask:0xf// 00000000BF5C: 0AB474FA FF015E82
	v_mul_f32_dpp v91, v130, v59 row_newbcast:15 row_mask:0xf bank_mask:0xf// 00000000BF64: 0AB676FA FF015F82
	v_mov_b32_e32 v146, 0x358637bd                             // 00000000BF6C: 7F2402FF 358637BD
	v_max3_f32 v146, |v60|, |v61|, v146                        // 00000000BF74: D1D30392 064A7B3C
	v_max3_f32 v146, |v62|, |v63|, v146                        // 00000000BF7C: D1D30392 064A7F3E
	v_max3_f32 v146, |v64|, |v65|, v146                        // 00000000BF84: D1D30392 064A8340
	v_max3_f32 v146, |v66|, |v67|, v146                        // 00000000BF8C: D1D30392 064A8742
	v_max3_f32 v146, |v68|, |v69|, v146                        // 00000000BF94: D1D30392 064A8B44
	v_max3_f32 v146, |v70|, |v71|, v146                        // 00000000BF9C: D1D30392 064A8F46
	v_max3_f32 v146, |v72|, |v73|, v146                        // 00000000BFA4: D1D30392 064A9348
	v_max3_f32 v146, |v74|, |v75|, v146                        // 00000000BFAC: D1D30392 064A974A
	v_mov_b32_e32 v147, 0x358637bd                             // 00000000BFB4: 7F2602FF 358637BD
	v_max3_f32 v147, |v76|, |v77|, v147                        // 00000000BFBC: D1D30393 064E9B4C
	v_max3_f32 v147, |v78|, |v79|, v147                        // 00000000BFC4: D1D30393 064E9F4E
	v_max3_f32 v147, |v80|, |v81|, v147                        // 00000000BFCC: D1D30393 064EA350
	v_max3_f32 v147, |v82|, |v83|, v147                        // 00000000BFD4: D1D30393 064EA752
	v_max3_f32 v147, |v84|, |v85|, v147                        // 00000000BFDC: D1D30393 064EAB54
	v_max3_f32 v147, |v86|, |v87|, v147                        // 00000000BFE4: D1D30393 064EAF56
	v_max3_f32 v147, |v88|, |v89|, v147                        // 00000000BFEC: D1D30393 064EB358
	v_max3_f32 v147, |v90|, |v91|, v147                        // 00000000BFF4: D1D30393 064EB75A
	ds_write_b64 v210, v[146:147] offset:2304                  // 00000000BFFC: D89A0900 000092D2
	buffer_load_dword v129, v202, s[28:31], 0 offen            // 00000000C004: E0501000 800781CA
	v_sub_f32_e32 v140, v136, v138                             // 00000000C00C: 05191588
	v_cmp_eq_u32_e64 s[92:93], v191, v136                      // 00000000C010: D0CA005C 000311BF
	s_nop 0                                                    // 00000000C018: BF800000
	v_cndmask_b32_e64 v140, v140, 0, s[92:93]                  // 00000000C01C: D100008C 0171018C
	v_mov_b32_e32 v136, v138                                   // 00000000C024: 7F10038A
	v_mul_f32_e32 v140, s51, v140                              // 00000000C028: 0B191833
	v_exp_f32_e32 v140, v140                                   // 00000000C02C: 7F18418C
	v_sub_f32_e32 v142, v137, v139                             // 00000000C030: 051D1789
	v_cmp_eq_u32_e64 s[92:93], v191, v137                      // 00000000C034: D0CA005C 000313BF
	s_nop 0                                                    // 00000000C03C: BF800000
	v_cndmask_b32_e64 v142, v142, 0, s[92:93]                  // 00000000C040: D100008E 0171018E
	v_mov_b32_e32 v137, v139                                   // 00000000C048: 7F12038B
	v_mul_f32_e32 v142, s51, v142                              // 00000000C04C: 0B1D1C33
	v_exp_f32_e32 v142, v142                                   // 00000000C050: 7F1C418E
	v_mov_b32_e32 v141, v140                                   // 00000000C054: 7F1A038C
	v_mov_b32_e32 v143, v142                                   // 00000000C058: 7F1E038E
	buffer_load_dword v131, v203, s[32:35], 0 offen            // 00000000C05C: E0501000 800883CB
	s_waitcnt lgkmcnt(0)                                       // 00000000C064: BF8CC07F
	s_barrier                                                  // 00000000C068: BF8A0000
	ds_read_b64 v[148:149], v211 offset:2304                   // 00000000C06C: D8EC0900 940000D3
	ds_read_b64 v[150:151], v211 offset:2432                   // 00000000C074: D8EC0980 960000D3
	ds_read_b64 v[152:153], v211 offset:2560                   // 00000000C07C: D8EC0A00 980000D3
	ds_read_b64 v[154:155], v211 offset:2688                   // 00000000C084: D8EC0A80 9A0000D3
	ds_read_b64 v[156:157], v211 offset:2816                   // 00000000C08C: D8EC0B00 9C0000D3
	ds_read_b64 v[158:159], v211 offset:2944                   // 00000000C094: D8EC0B80 9E0000D3
	ds_read_b64 v[160:161], v211 offset:3072                   // 00000000C09C: D8EC0C00 A00000D3
	ds_read_b64 v[162:163], v211 offset:3200                   // 00000000C0A4: D8EC0C80 A20000D3
	ds_read_b64 v[164:165], v211 offset:3328                   // 00000000C0AC: D8EC0D00 A40000D3
	ds_read_b64 v[166:167], v211 offset:3456                   // 00000000C0B4: D8EC0D80 A60000D3
	ds_read_b64 v[168:169], v211 offset:3584                   // 00000000C0BC: D8EC0E00 A80000D3
	ds_read_b64 v[170:171], v211 offset:3712                   // 00000000C0C4: D8EC0E80 AA0000D3
	ds_read_b64 v[172:173], v211 offset:3840                   // 00000000C0CC: D8EC0F00 AC0000D3
	ds_read_b64 v[174:175], v211 offset:3968                   // 00000000C0D4: D8EC0F80 AE0000D3
	ds_read_b64 v[176:177], v211 offset:4096                   // 00000000C0DC: D8EC1000 B00000D3
	ds_read_b64 v[178:179], v211 offset:4224                   // 00000000C0E4: D8EC1080 B20000D3
	v_mul_f32_e32 v144, v140, v144                             // 00000000C0EC: 0B21218C
	v_add_f32_e32 v144, v28, v144                              // 00000000C0F0: 0321211C
	v_add_f32_e32 v144, v29, v144                              // 00000000C0F4: 0321211D
	v_add_f32_e32 v144, v30, v144                              // 00000000C0F8: 0321211E
	v_add_f32_e32 v144, v31, v144                              // 00000000C0FC: 0321211F
	v_add_f32_e32 v144, v32, v144                              // 00000000C100: 03212120
	v_add_f32_e32 v144, v33, v144                              // 00000000C104: 03212121
	v_add_f32_e32 v144, v34, v144                              // 00000000C108: 03212122
	v_add_f32_e32 v144, v35, v144                              // 00000000C10C: 03212123
	v_add_f32_e32 v144, v36, v144                              // 00000000C110: 03212124
	v_add_f32_e32 v144, v37, v144                              // 00000000C114: 03212125
	v_add_f32_e32 v144, v38, v144                              // 00000000C118: 03212126
	v_add_f32_e32 v144, v39, v144                              // 00000000C11C: 03212127
	v_add_f32_e32 v144, v40, v144                              // 00000000C120: 03212128
	v_add_f32_e32 v144, v41, v144                              // 00000000C124: 03212129
	v_add_f32_e32 v144, v42, v144                              // 00000000C128: 0321212A
	v_add_f32_e32 v144, v43, v144                              // 00000000C12C: 0321212B
	v_mul_f32_e32 v145, v142, v145                             // 00000000C130: 0B23238E
	v_add_f32_e32 v145, v44, v145                              // 00000000C134: 0323232C
	v_add_f32_e32 v145, v45, v145                              // 00000000C138: 0323232D
	v_add_f32_e32 v145, v46, v145                              // 00000000C13C: 0323232E
	v_add_f32_e32 v145, v47, v145                              // 00000000C140: 0323232F
	v_add_f32_e32 v145, v48, v145                              // 00000000C144: 03232330
	v_add_f32_e32 v145, v49, v145                              // 00000000C148: 03232331
	v_add_f32_e32 v145, v50, v145                              // 00000000C14C: 03232332
	v_add_f32_e32 v145, v51, v145                              // 00000000C150: 03232333
	v_add_f32_e32 v145, v52, v145                              // 00000000C154: 03232334
	v_add_f32_e32 v145, v53, v145                              // 00000000C158: 03232335
	v_add_f32_e32 v145, v54, v145                              // 00000000C15C: 03232336
	v_add_f32_e32 v145, v55, v145                              // 00000000C160: 03232337
	v_add_f32_e32 v145, v56, v145                              // 00000000C164: 03232338
	v_add_f32_e32 v145, v57, v145                              // 00000000C168: 03232339
	v_add_f32_e32 v145, v58, v145                              // 00000000C16C: 0323233A
	v_add_f32_e32 v145, v59, v145                              // 00000000C170: 0323233B
	s_waitcnt lgkmcnt(0)                                       // 00000000C174: BF8CC07F
	v_max3_f32 v146, v148, v150, v146                          // 00000000C178: D1D30092 064B2D94
	v_max3_f32 v147, v149, v151, v147                          // 00000000C180: D1D30093 064F2F95
	v_max3_f32 v146, v152, v154, v146                          // 00000000C188: D1D30092 064B3598
	v_max3_f32 v147, v153, v155, v147                          // 00000000C190: D1D30093 064F3799
	v_max3_f32 v146, v156, v158, v146                          // 00000000C198: D1D30092 064B3D9C
	v_max3_f32 v147, v157, v159, v147                          // 00000000C1A0: D1D30093 064F3F9D
	v_max3_f32 v146, v160, v162, v146                          // 00000000C1A8: D1D30092 064B45A0
	v_max3_f32 v147, v161, v163, v147                          // 00000000C1B0: D1D30093 064F47A1
	v_max3_f32 v146, v164, v166, v146                          // 00000000C1B8: D1D30092 064B4DA4
	v_max3_f32 v147, v165, v167, v147                          // 00000000C1C0: D1D30093 064F4FA5
	v_max3_f32 v146, v168, v170, v146                          // 00000000C1C8: D1D30092 064B55A8
	v_max3_f32 v147, v169, v171, v147                          // 00000000C1D0: D1D30093 064F57A9
	v_max3_f32 v146, v172, v174, v146                          // 00000000C1D8: D1D30092 064B5DAC
	v_max3_f32 v147, v173, v175, v147                          // 00000000C1E0: D1D30093 064F5FAD
	v_max3_f32 v146, v176, v178, v146                          // 00000000C1E8: D1D30092 064B65B0
	v_max3_f32 v147, v177, v179, v147                          // 00000000C1F0: D1D30093 064F67B1
	v_rcp_f32_e32 v146, v146                                   // 00000000C1F8: 7F244592
	v_rcp_f32_e32 v147, v147                                   // 00000000C1FC: 7F264593
	v_mul_f32_e32 v146, 0x43700000, v146                       // 00000000C200: 0B2524FF 43700000
	v_mul_f32_e32 v147, 0x43700000, v147                       // 00000000C208: 0B2726FF 43700000
	v_mul_f32_e32 v28, v146, v60                               // 00000000C210: 0A387992
	v_mul_f32_e32 v29, v146, v61                               // 00000000C214: 0A3A7B92
	v_mul_f32_e32 v30, v146, v62                               // 00000000C218: 0A3C7D92
	v_mul_f32_e32 v31, v146, v63                               // 00000000C21C: 0A3E7F92
	v_mul_f32_e32 v32, v146, v64                               // 00000000C220: 0A408192
	v_mul_f32_e32 v33, v146, v65                               // 00000000C224: 0A428392
	v_mul_f32_e32 v34, v146, v66                               // 00000000C228: 0A448592
	v_mul_f32_e32 v35, v146, v67                               // 00000000C22C: 0A468792
	v_mul_f32_e32 v36, v146, v68                               // 00000000C230: 0A488992
	v_mul_f32_e32 v37, v146, v69                               // 00000000C234: 0A4A8B92
	v_mul_f32_e32 v38, v146, v70                               // 00000000C238: 0A4C8D92
	v_mul_f32_e32 v39, v146, v71                               // 00000000C23C: 0A4E8F92
	v_mul_f32_e32 v40, v146, v72                               // 00000000C240: 0A509192
	v_mul_f32_e32 v41, v146, v73                               // 00000000C244: 0A529392
	v_mul_f32_e32 v42, v146, v74                               // 00000000C248: 0A549592
	v_mul_f32_e32 v43, v146, v75                               // 00000000C24C: 0A569792
	v_mul_f32_e32 v44, v147, v76                               // 00000000C250: 0A589993
	v_mul_f32_e32 v45, v147, v77                               // 00000000C254: 0A5A9B93
	v_mul_f32_e32 v46, v147, v78                               // 00000000C258: 0A5C9D93
	v_mul_f32_e32 v47, v147, v79                               // 00000000C25C: 0A5E9F93
	v_mul_f32_e32 v48, v147, v80                               // 00000000C260: 0A60A193
	v_mul_f32_e32 v49, v147, v81                               // 00000000C264: 0A62A393
	v_mul_f32_e32 v50, v147, v82                               // 00000000C268: 0A64A593
	v_mul_f32_e32 v51, v147, v83                               // 00000000C26C: 0A66A793
	v_mul_f32_e32 v52, v147, v84                               // 00000000C270: 0A68A993
	v_mul_f32_e32 v53, v147, v85                               // 00000000C274: 0A6AAB93
	v_mul_f32_e32 v54, v147, v86                               // 00000000C278: 0A6CAD93
	v_mul_f32_e32 v55, v147, v87                               // 00000000C27C: 0A6EAF93
	v_mul_f32_e32 v56, v147, v88                               // 00000000C280: 0A70B193
	v_mul_f32_e32 v57, v147, v89                               // 00000000C284: 0A72B393
	v_mul_f32_e32 v58, v147, v90                               // 00000000C288: 0A74B593
	v_mul_f32_e32 v59, v147, v91                               // 00000000C28C: 0A76B793
	v_cvt_pk_fp8_f32 v28, v28, v29                             // 00000000C290: D2A2001C 00023B1C
	v_cvt_pk_fp8_f32 v28, v30, v31 op_sel:[0,0,1]              // 00000000C298: D2A2401C 00023F1E
	v_cvt_pk_fp8_f32 v29, v32, v33                             // 00000000C2A0: D2A2001D 00024320
	v_cvt_pk_fp8_f32 v29, v34, v35 op_sel:[0,0,1]              // 00000000C2A8: D2A2401D 00024722
	v_cvt_pk_fp8_f32 v30, v36, v37                             // 00000000C2B0: D2A2001E 00024B24
	v_cvt_pk_fp8_f32 v30, v38, v39 op_sel:[0,0,1]              // 00000000C2B8: D2A2401E 00024F26
	v_cvt_pk_fp8_f32 v31, v40, v41                             // 00000000C2C0: D2A2001F 00025328
	v_cvt_pk_fp8_f32 v31, v42, v43 op_sel:[0,0,1]              // 00000000C2C8: D2A2401F 0002572A
	v_cvt_pk_fp8_f32 v32, v44, v45                             // 00000000C2D0: D2A20020 00025B2C
	v_cvt_pk_fp8_f32 v32, v46, v47 op_sel:[0,0,1]              // 00000000C2D8: D2A24020 00025F2E
	v_cvt_pk_fp8_f32 v33, v48, v49                             // 00000000C2E0: D2A20021 00026330
	v_cvt_pk_fp8_f32 v33, v50, v51 op_sel:[0,0,1]              // 00000000C2E8: D2A24021 00026732
	v_cvt_pk_fp8_f32 v34, v52, v53                             // 00000000C2F0: D2A20022 00026B34
	v_cvt_pk_fp8_f32 v34, v54, v55 op_sel:[0,0,1]              // 00000000C2F8: D2A24022 00026F36
	v_cvt_pk_fp8_f32 v35, v56, v57                             // 00000000C300: D2A20023 00027338
	v_cvt_pk_fp8_f32 v35, v58, v59 op_sel:[0,0,1]              // 00000000C308: D2A24023 0002773A
	ds_write_b32 v212, v28 offset:4608                         // 00000000C310: D81A1200 00001CD4
	ds_write_b32 v212, v29 offset:5632                         // 00000000C318: D81A1600 00001DD4
	ds_write_b32 v212, v30 offset:6656                         // 00000000C320: D81A1A00 00001ED4
	ds_write_b32 v212, v31 offset:7680                         // 00000000C328: D81A1E00 00001FD4
	ds_write_b32 v212, v32 offset:8704                         // 00000000C330: D81A2200 000020D4
	ds_write_b32 v212, v33 offset:9728                         // 00000000C338: D81A2600 000021D4
	ds_write_b32 v212, v34 offset:10752                        // 00000000C340: D81A2A00 000022D4
	ds_write_b32 v212, v35 offset:11776                        // 00000000C348: D81A2E00 000023D4
	v_rcp_f32_e32 v132, v146                                   // 00000000C350: 7F084592
	v_rcp_f32_e32 v134, v147                                   // 00000000C354: 7F0C4593
	v_mov_b32_e32 v133, v132                                   // 00000000C358: 7F0A0384
	v_mov_b32_e32 v135, v134                                   // 00000000C35C: 7F0E0386
	v_pk_add_f32 v[108:109], v[108:109], v[92:93]              // 00000000C360: D3B2406C 1802B96C
	v_pk_add_f32 v[110:111], v[110:111], v[94:95]              // 00000000C368: D3B2406E 1802BD6E
	v_pk_add_f32 v[112:113], v[112:113], v[96:97]              // 00000000C370: D3B24070 1802C170
	v_pk_add_f32 v[114:115], v[114:115], v[98:99]              // 00000000C378: D3B24072 1802C572
	v_pk_add_f32 v[116:117], v[116:117], v[100:101]            // 00000000C380: D3B24074 1802C974
	v_pk_add_f32 v[118:119], v[118:119], v[102:103]            // 00000000C388: D3B24076 1802CD76
	v_pk_add_f32 v[120:121], v[120:121], v[104:105]            // 00000000C390: D3B24078 1802D178
	v_pk_add_f32 v[122:123], v[122:123], v[106:107]            // 00000000C398: D3B2407A 1802D57A
	s_waitcnt lgkmcnt(0)                                       // 00000000C3A0: BF8CC07F
	s_barrier                                                  // 00000000C3A4: BF8A0000
	ds_read_b128 v[28:31], v213 offset:4608                    // 00000000C3A8: D9FE1200 1C0000D5
	ds_read_b128 v[32:35], v213 offset:5632                    // 00000000C3B0: D9FE1600 200000D5
	ds_read_b128 v[36:39], v213 offset:6656                    // 00000000C3B8: D9FE1A00 240000D5
	ds_read_b128 v[40:43], v213 offset:7680                    // 00000000C3C0: D9FE1E00 280000D5
	ds_read_b128 v[44:47], v213 offset:8704                    // 00000000C3C8: D9FE2200 2C0000D5
	ds_read_b128 v[48:51], v213 offset:9728                    // 00000000C3D0: D9FE2600 300000D5
	ds_read_b128 v[52:55], v213 offset:10752                   // 00000000C3D8: D9FE2A00 340000D5
	ds_read_b128 v[56:59], v213 offset:11776                   // 00000000C3E0: D9FE2E00 380000D5
	s_waitcnt vmcnt(10)                                        // 00000000C3E8: BF8C0F7A
	s_waitcnt lgkmcnt(7)                                       // 00000000C3EC: BF8CC77F
	v_mfma_f32_16x16x32_fp8_fp8 v[92:95], a[64:65], v[28:29], 0// 00000000C3F0: D3F3005C 0A023940
	v_mfma_f32_16x16x32_fp8_fp8 v[96:99], a[80:81], v[28:29], 0// 00000000C3F8: D3F30060 0A023950
	v_mfma_f32_16x16x32_fp8_fp8 v[92:95], a[66:67], v[30:31], v[92:95]// 00000000C400: D3F3005C 0D723D42
	buffer_load_dwordx4 a[96:99], v198, s[16:19], 0 offen      // 00000000C408: E05C1000 808460C6
	v_mfma_f32_16x16x32_fp8_fp8 v[96:99], a[82:83], v[30:31], v[96:99]// 00000000C410: D3F30060 0D823D52
	s_waitcnt lgkmcnt(6)                                       // 00000000C418: BF8CC67F
	v_mfma_f32_16x16x32_fp8_fp8 v[92:95], a[68:69], v[32:33], v[92:95]// 00000000C41C: D3F3005C 0D724144
	v_mfma_f32_16x16x32_fp8_fp8 v[96:99], a[84:85], v[32:33], v[96:99]// 00000000C424: D3F30060 0D824154
	v_mfma_f32_16x16x32_fp8_fp8 v[92:95], a[70:71], v[34:35], v[92:95]// 00000000C42C: D3F3005C 0D724546
	buffer_load_dwordx4 a[100:103], v199, s[16:19], 0 offen    // 00000000C434: E05C1000 808464C7
	v_mfma_f32_16x16x32_fp8_fp8 v[96:99], a[86:87], v[34:35], v[96:99]// 00000000C43C: D3F30060 0D824556
	s_waitcnt lgkmcnt(5)                                       // 00000000C444: BF8CC57F
	v_mfma_f32_16x16x32_fp8_fp8 v[92:95], a[72:73], v[36:37], v[92:95]// 00000000C448: D3F3005C 0D724948
	v_mfma_f32_16x16x32_fp8_fp8 v[96:99], a[88:89], v[36:37], v[96:99]// 00000000C450: D3F30060 0D824958
	v_mfma_f32_16x16x32_fp8_fp8 v[92:95], a[74:75], v[38:39], v[92:95]// 00000000C458: D3F3005C 0D724D4A
	buffer_load_dwordx4 a[104:107], v200, s[16:19], 0 offen    // 00000000C460: E05C1000 808468C8
	v_mfma_f32_16x16x32_fp8_fp8 v[96:99], a[90:91], v[38:39], v[96:99]// 00000000C468: D3F30060 0D824D5A
	s_waitcnt lgkmcnt(4)                                       // 00000000C470: BF8CC47F
	v_mfma_f32_16x16x32_fp8_fp8 v[92:95], a[76:77], v[40:41], v[92:95]// 00000000C474: D3F3005C 0D72514C
	v_mfma_f32_16x16x32_fp8_fp8 v[96:99], a[92:93], v[40:41], v[96:99]// 00000000C47C: D3F30060 0D82515C
	v_mfma_f32_16x16x32_fp8_fp8 v[92:95], a[78:79], v[42:43], v[92:95]// 00000000C484: D3F3005C 0D72554E
	buffer_load_dwordx4 a[108:111], v201, s[16:19], 0 offen    // 00000000C48C: E05C1000 80846CC9
	v_mfma_f32_16x16x32_fp8_fp8 v[96:99], a[94:95], v[42:43], v[96:99]// 00000000C494: D3F30060 0D82555E
	s_waitcnt lgkmcnt(3)                                       // 00000000C49C: BF8CC37F
	v_mfma_f32_16x16x32_fp8_fp8 v[100:103], a[64:65], v[44:45], 0// 00000000C4A0: D3F30064 0A025940
	v_mfma_f32_16x16x32_fp8_fp8 v[104:107], a[80:81], v[44:45], 0// 00000000C4A8: D3F30068 0A025950
	v_mfma_f32_16x16x32_fp8_fp8 v[100:103], a[66:67], v[46:47], v[100:103]// 00000000C4B0: D3F30064 0D925D42
	buffer_load_dwordx4 a[112:115], v198, s[16:19], 0 offen offset:1024// 00000000C4B8: E05C1400 808470C6
	v_mfma_f32_16x16x32_fp8_fp8 v[104:107], a[82:83], v[46:47], v[104:107]// 00000000C4C0: D3F30068 0DA25D52
	s_waitcnt lgkmcnt(2)                                       // 00000000C4C8: BF8CC27F
	v_mfma_f32_16x16x32_fp8_fp8 v[100:103], a[68:69], v[48:49], v[100:103]// 00000000C4CC: D3F30064 0D926144
	v_mfma_f32_16x16x32_fp8_fp8 v[104:107], a[84:85], v[48:49], v[104:107]// 00000000C4D4: D3F30068 0DA26154
	v_mfma_f32_16x16x32_fp8_fp8 v[100:103], a[70:71], v[50:51], v[100:103]// 00000000C4DC: D3F30064 0D926546
	buffer_load_dwordx4 a[116:119], v199, s[16:19], 0 offen offset:1024// 00000000C4E4: E05C1400 808474C7
	v_mfma_f32_16x16x32_fp8_fp8 v[104:107], a[86:87], v[50:51], v[104:107]// 00000000C4EC: D3F30068 0DA26556
	s_waitcnt lgkmcnt(1)                                       // 00000000C4F4: BF8CC17F
	v_mfma_f32_16x16x32_fp8_fp8 v[100:103], a[72:73], v[52:53], v[100:103]// 00000000C4F8: D3F30064 0D926948
	v_mfma_f32_16x16x32_fp8_fp8 v[104:107], a[88:89], v[52:53], v[104:107]// 00000000C500: D3F30068 0DA26958
	v_mfma_f32_16x16x32_fp8_fp8 v[100:103], a[74:75], v[54:55], v[100:103]// 00000000C508: D3F30064 0D926D4A
	buffer_load_dwordx4 a[120:123], v200, s[16:19], 0 offen offset:1024// 00000000C510: E05C1400 808478C8
	v_mfma_f32_16x16x32_fp8_fp8 v[104:107], a[90:91], v[54:55], v[104:107]// 00000000C518: D3F30068 0DA26D5A
	s_waitcnt lgkmcnt(0)                                       // 00000000C520: BF8CC07F
	v_mfma_f32_16x16x32_fp8_fp8 v[100:103], a[76:77], v[56:57], v[100:103]// 00000000C524: D3F30064 0D92714C
	v_mfma_f32_16x16x32_fp8_fp8 v[104:107], a[92:93], v[56:57], v[104:107]// 00000000C52C: D3F30068 0DA2715C
	v_mfma_f32_16x16x32_fp8_fp8 v[100:103], a[78:79], v[58:59], v[100:103]// 00000000C534: D3F30064 0D92754E
	buffer_load_dwordx4 a[124:127], v201, s[16:19], 0 offen offset:1024// 00000000C53C: E05C1400 80847CC9
	v_mfma_f32_16x16x32_fp8_fp8 v[104:107], a[94:95], v[58:59], v[104:107]// 00000000C544: D3F30068 0DA2755E
	s_addk_i32 s49, 0x100                                      // 00000000C54C: B7310100
	s_branch label_3124                                        // 00000000C550: BF82080F

000000000000c554 <label_2915>:
	s_cmp_lt_i32 s49, s60                                      // 00000000C554: BF043C31
	s_cbranch_scc0 label_3124                                  // 00000000C558: BF84080D
	s_waitcnt vmcnt(10)                                        // 00000000C55C: BF8C0F7A
	v_mfma_f32_16x16x32_fp8_fp8 v[28:31], a[32:33], v[12:13], 0// 00000000C560: D3F3001C 0A021920
	s_add_u32 s12, s84, s64                                    // 00000000C568: 800C4054
	s_addc_u32 s13, s85, 0                                     // 00000000C56C: 820D8055
	v_mfma_f32_16x16x32_fp8_fp8 v[28:31], a[34:35], v[14:15], v[28:31]// 00000000C570: D3F3001C 0C721D22
	s_add_u32 s16, s86, s65                                    // 00000000C578: 80104156
	s_addc_u32 s17, s87, 0                                     // 00000000C57C: 82118057
	v_mfma_f32_16x16x32_fp8_fp8 v[28:31], a[36:37], v[16:17], v[28:31]// 00000000C580: D3F3001C 0C722124
	buffer_load_dwordx4 a[0:3], v196, s[12:15], 0 offen        // 00000000C588: E05C1000 808300C4
	v_mfma_f32_16x16x32_fp8_fp8 v[28:31], a[38:39], v[18:19], v[28:31]// 00000000C590: D3F3001C 0C722526
	s_add_u32 s28, s88, s66                                    // 00000000C598: 801C4258
	s_addc_u32 s29, s89, 0                                     // 00000000C59C: 821D8059
	v_mfma_f32_16x16x32_fp8_fp8 v[32:35], a[40:41], v[12:13], 0// 00000000C5A0: D3F30020 0A021928
	s_add_u32 s32, s90, s66                                    // 00000000C5A8: 8020425A
	s_addc_u32 s33, s91, 0                                     // 00000000C5AC: 8221805B
	v_mfma_f32_16x16x32_fp8_fp8 v[32:35], a[42:43], v[14:15], v[32:35]// 00000000C5B0: D3F30020 0C821D2A
	s_add_u32 s64, s64, 0x1000                                 // 00000000C5B8: 8040FF40 00001000
	s_add_u32 s65, s65, 0x8000                                 // 00000000C5C0: 8041FF41 00008000
	v_mfma_f32_16x16x32_fp8_fp8 v[32:35], a[44:45], v[16:17], v[32:35]// 00000000C5C8: D3F30020 0C82212C
	buffer_load_dwordx4 a[4:7], v197, s[12:15], 0 offen        // 00000000C5D0: E05C1000 808304C5
	v_mfma_f32_16x16x32_fp8_fp8 v[32:35], a[46:47], v[18:19], v[32:35]// 00000000C5D8: D3F30020 0C82252E
	s_add_u32 s66, s66, 0x400                                  // 00000000C5E0: 8042FF42 00000400
	v_mfma_f32_16x16x32_fp8_fp8 v[36:39], a[48:49], v[12:13], 0// 00000000C5E8: D3F30024 0A021930
	v_mfma_f32_16x16x32_fp8_fp8 v[36:39], a[50:51], v[14:15], v[36:39]// 00000000C5F0: D3F30024 0C921D32
	v_mfma_f32_16x16x32_fp8_fp8 v[36:39], a[52:53], v[16:17], v[36:39]// 00000000C5F8: D3F30024 0C922134
	buffer_load_dwordx4 a[8:11], v196, s[12:15], 0 offen offset:1024// 00000000C600: E05C1400 808308C4
	v_mfma_f32_16x16x32_fp8_fp8 v[36:39], a[54:55], v[18:19], v[36:39]// 00000000C608: D3F30024 0C922536
	v_mfma_f32_16x16x32_fp8_fp8 v[40:43], a[56:57], v[12:13], 0// 00000000C610: D3F30028 0A021938
	v_mfma_f32_16x16x32_fp8_fp8 v[40:43], a[58:59], v[14:15], v[40:43]// 00000000C618: D3F30028 0CA21D3A
	v_mfma_f32_16x16x32_fp8_fp8 v[40:43], a[60:61], v[16:17], v[40:43]// 00000000C620: D3F30028 0CA2213C
	buffer_load_dwordx4 a[12:15], v197, s[12:15], 0 offen offset:1024// 00000000C628: E05C1400 80830CC5
	v_mfma_f32_16x16x32_fp8_fp8 v[40:43], a[62:63], v[18:19], v[40:43]// 00000000C630: D3F30028 0CA2253E
	v_mfma_f32_16x16x32_fp8_fp8 v[44:47], a[32:33], v[20:21], 0// 00000000C638: D3F3002C 0A022920
	v_mfma_f32_16x16x32_fp8_fp8 v[44:47], a[34:35], v[22:23], v[44:47]// 00000000C640: D3F3002C 0CB22D22
	v_mfma_f32_16x16x32_fp8_fp8 v[44:47], a[36:37], v[24:25], v[44:47]// 00000000C648: D3F3002C 0CB23124
	buffer_load_dwordx4 a[16:19], v196, s[12:15], 0 offen offset:2048// 00000000C650: E05C1800 808310C4
	v_mfma_f32_16x16x32_fp8_fp8 v[44:47], a[38:39], v[26:27], v[44:47]// 00000000C658: D3F3002C 0CB23526
	v_mfma_f32_16x16x32_fp8_fp8 v[48:51], a[40:41], v[20:21], 0// 00000000C660: D3F30030 0A022928
	v_mfma_f32_16x16x32_fp8_fp8 v[48:51], a[42:43], v[22:23], v[48:51]// 00000000C668: D3F30030 0CC22D2A
	v_mfma_f32_16x16x32_fp8_fp8 v[48:51], a[44:45], v[24:25], v[48:51]// 00000000C670: D3F30030 0CC2312C
	buffer_load_dwordx4 a[20:23], v197, s[12:15], 0 offen offset:2048// 00000000C678: E05C1800 808314C5
	v_mfma_f32_16x16x32_fp8_fp8 v[48:51], a[46:47], v[26:27], v[48:51]// 00000000C680: D3F30030 0CC2352E
	v_mfma_f32_16x16x32_fp8_fp8 v[52:55], a[48:49], v[20:21], 0// 00000000C688: D3F30034 0A022930
	v_mfma_f32_16x16x32_fp8_fp8 v[52:55], a[50:51], v[22:23], v[52:55]// 00000000C690: D3F30034 0CD22D32
	v_mfma_f32_16x16x32_fp8_fp8 v[52:55], a[52:53], v[24:25], v[52:55]// 00000000C698: D3F30034 0CD23134
	buffer_load_dwordx4 a[24:27], v196, s[12:15], 0 offen offset:3072// 00000000C6A0: E05C1C00 808318C4
	v_mfma_f32_16x16x32_fp8_fp8 v[52:55], a[54:55], v[26:27], v[52:55]// 00000000C6A8: D3F30034 0CD23536
	v_mfma_f32_16x16x32_fp8_fp8 v[56:59], a[56:57], v[20:21], 0// 00000000C6B0: D3F30038 0A022938
	v_mfma_f32_16x16x32_fp8_fp8 v[56:59], a[58:59], v[22:23], v[56:59]// 00000000C6B8: D3F30038 0CE22D3A
	v_mfma_f32_16x16x32_fp8_fp8 v[56:59], a[60:61], v[24:25], v[56:59]// 00000000C6C0: D3F30038 0CE2313C
	buffer_load_dwordx4 a[28:31], v197, s[12:15], 0 offen offset:3072// 00000000C6C8: E05C1C00 80831CC5
	v_mfma_f32_16x16x32_fp8_fp8 v[56:59], a[62:63], v[26:27], v[56:59]// 00000000C6D0: D3F30038 0CE2353E
	s_waitcnt vmcnt(16)                                        // 00000000C6D8: BF8C4F70
	v_pk_mul_f32 v[28:29], v[124:125], v[28:29]                // 00000000C6DC: D3B1401C 1802397C
	v_pk_mul_f32 v[30:31], v[124:125], v[30:31]                // 00000000C6E4: D3B1401E 18023D7C
	v_mul_f32_dpp v28, v129, v28 row_newbcast:0 row_mask:0xf bank_mask:0xf// 00000000C6EC: 0A3838FA FF015081
	v_mul_f32_dpp v29, v129, v29 row_newbcast:1 row_mask:0xf bank_mask:0xf// 00000000C6F4: 0A3A3AFA FF015181
	v_mul_f32_dpp v30, v129, v30 row_newbcast:2 row_mask:0xf bank_mask:0xf// 00000000C6FC: 0A3C3CFA FF015281
	v_mul_f32_dpp v31, v129, v31 row_newbcast:3 row_mask:0xf bank_mask:0xf// 00000000C704: 0A3E3EFA FF015381
	v_pk_mul_f32 v[32:33], v[124:125], v[32:33]                // 00000000C70C: D3B14020 1802417C
	v_pk_mul_f32 v[34:35], v[124:125], v[34:35]                // 00000000C714: D3B14022 1802457C
	v_mul_f32_dpp v32, v129, v32 row_newbcast:4 row_mask:0xf bank_mask:0xf// 00000000C71C: 0A4040FA FF015481
	v_mul_f32_dpp v33, v129, v33 row_newbcast:5 row_mask:0xf bank_mask:0xf// 00000000C724: 0A4242FA FF015581
	v_mul_f32_dpp v34, v129, v34 row_newbcast:6 row_mask:0xf bank_mask:0xf// 00000000C72C: 0A4444FA FF015681
	v_mul_f32_dpp v35, v129, v35 row_newbcast:7 row_mask:0xf bank_mask:0xf// 00000000C734: 0A4646FA FF015781
	v_pk_mul_f32 v[36:37], v[124:125], v[36:37]                // 00000000C73C: D3B14024 1802497C
	v_pk_mul_f32 v[38:39], v[124:125], v[38:39]                // 00000000C744: D3B14026 18024D7C
	v_mul_f32_dpp v36, v129, v36 row_newbcast:8 row_mask:0xf bank_mask:0xf// 00000000C74C: 0A4848FA FF015881
	v_mul_f32_dpp v37, v129, v37 row_newbcast:9 row_mask:0xf bank_mask:0xf// 00000000C754: 0A4A4AFA FF015981
	v_mul_f32_dpp v38, v129, v38 row_newbcast:10 row_mask:0xf bank_mask:0xf// 00000000C75C: 0A4C4CFA FF015A81
	v_mul_f32_dpp v39, v129, v39 row_newbcast:11 row_mask:0xf bank_mask:0xf// 00000000C764: 0A4E4EFA FF015B81
	v_pk_mul_f32 v[40:41], v[124:125], v[40:41]                // 00000000C76C: D3B14028 1802517C
	v_pk_mul_f32 v[42:43], v[124:125], v[42:43]                // 00000000C774: D3B1402A 1802557C
	v_mul_f32_dpp v40, v129, v40 row_newbcast:12 row_mask:0xf bank_mask:0xf// 00000000C77C: 0A5050FA FF015C81
	v_mul_f32_dpp v41, v129, v41 row_newbcast:13 row_mask:0xf bank_mask:0xf// 00000000C784: 0A5252FA FF015D81
	v_mul_f32_dpp v42, v129, v42 row_newbcast:14 row_mask:0xf bank_mask:0xf// 00000000C78C: 0A5454FA FF015E81
	v_mul_f32_dpp v43, v129, v43 row_newbcast:15 row_mask:0xf bank_mask:0xf// 00000000C794: 0A5656FA FF015F81
	v_pk_mul_f32 v[44:45], v[126:127], v[44:45]                // 00000000C79C: D3B1402C 1802597E
	v_pk_mul_f32 v[46:47], v[126:127], v[46:47]                // 00000000C7A4: D3B1402E 18025D7E
	v_mul_f32_dpp v44, v129, v44 row_newbcast:0 row_mask:0xf bank_mask:0xf// 00000000C7AC: 0A5858FA FF015081
	v_mul_f32_dpp v45, v129, v45 row_newbcast:1 row_mask:0xf bank_mask:0xf// 00000000C7B4: 0A5A5AFA FF015181
	v_mul_f32_dpp v46, v129, v46 row_newbcast:2 row_mask:0xf bank_mask:0xf// 00000000C7BC: 0A5C5CFA FF015281
	v_mul_f32_dpp v47, v129, v47 row_newbcast:3 row_mask:0xf bank_mask:0xf// 00000000C7C4: 0A5E5EFA FF015381
	v_pk_mul_f32 v[48:49], v[126:127], v[48:49]                // 00000000C7CC: D3B14030 1802617E
	v_pk_mul_f32 v[50:51], v[126:127], v[50:51]                // 00000000C7D4: D3B14032 1802657E
	v_mul_f32_dpp v48, v129, v48 row_newbcast:4 row_mask:0xf bank_mask:0xf// 00000000C7DC: 0A6060FA FF015481
	v_mul_f32_dpp v49, v129, v49 row_newbcast:5 row_mask:0xf bank_mask:0xf// 00000000C7E4: 0A6262FA FF015581
	v_mul_f32_dpp v50, v129, v50 row_newbcast:6 row_mask:0xf bank_mask:0xf// 00000000C7EC: 0A6464FA FF015681
	v_mul_f32_dpp v51, v129, v51 row_newbcast:7 row_mask:0xf bank_mask:0xf// 00000000C7F4: 0A6666FA FF015781
	v_pk_mul_f32 v[52:53], v[126:127], v[52:53]                // 00000000C7FC: D3B14034 1802697E
	v_pk_mul_f32 v[54:55], v[126:127], v[54:55]                // 00000000C804: D3B14036 18026D7E
	v_mul_f32_dpp v52, v129, v52 row_newbcast:8 row_mask:0xf bank_mask:0xf// 00000000C80C: 0A6868FA FF015881
	v_mul_f32_dpp v53, v129, v53 row_newbcast:9 row_mask:0xf bank_mask:0xf// 00000000C814: 0A6A6AFA FF015981
	v_mul_f32_dpp v54, v129, v54 row_newbcast:10 row_mask:0xf bank_mask:0xf// 00000000C81C: 0A6C6CFA FF015A81
	v_mul_f32_dpp v55, v129, v55 row_newbcast:11 row_mask:0xf bank_mask:0xf// 00000000C824: 0A6E6EFA FF015B81
	v_pk_mul_f32 v[56:57], v[126:127], v[56:57]                // 00000000C82C: D3B14038 1802717E
	v_pk_mul_f32 v[58:59], v[126:127], v[58:59]                // 00000000C834: D3B1403A 1802757E
	v_mul_f32_dpp v56, v129, v56 row_newbcast:12 row_mask:0xf bank_mask:0xf// 00000000C83C: 0A7070FA FF015C81
	v_mul_f32_dpp v57, v129, v57 row_newbcast:13 row_mask:0xf bank_mask:0xf// 00000000C844: 0A7272FA FF015D81
	v_mul_f32_dpp v58, v129, v58 row_newbcast:14 row_mask:0xf bank_mask:0xf// 00000000C84C: 0A7474FA FF015E81
	v_mul_f32_dpp v59, v129, v59 row_newbcast:15 row_mask:0xf bank_mask:0xf// 00000000C854: 0A7676FA FF015F81
	v_add_u32_e32 v180, s49, v190                              // 00000000C85C: 69697C31
	v_add_u32_e32 v181, 0, v180                                // 00000000C860: 696B6880
	v_cmp_lt_u32_e64 s[92:93], v181, v188                      // 00000000C864: D0C9005C 000379B5
	s_nop 0                                                    // 00000000C86C: BF800000
	v_cndmask_b32_e64 v28, v191, v28, s[92:93]                 // 00000000C870: D100001C 017239BF
	v_add_u32_e32 v181, 1, v180                                // 00000000C878: 696B6881
	v_cmp_lt_u32_e64 s[92:93], v181, v188                      // 00000000C87C: D0C9005C 000379B5
	s_nop 0                                                    // 00000000C884: BF800000
	v_cndmask_b32_e64 v29, v191, v29, s[92:93]                 // 00000000C888: D100001D 01723BBF
	v_add_u32_e32 v181, 2, v180                                // 00000000C890: 696B6882
	v_cmp_lt_u32_e64 s[92:93], v181, v188                      // 00000000C894: D0C9005C 000379B5
	s_nop 0                                                    // 00000000C89C: BF800000
	v_cndmask_b32_e64 v30, v191, v30, s[92:93]                 // 00000000C8A0: D100001E 01723DBF
	v_add_u32_e32 v181, 3, v180                                // 00000000C8A8: 696B6883
	v_cmp_lt_u32_e64 s[92:93], v181, v188                      // 00000000C8AC: D0C9005C 000379B5
	s_nop 0                                                    // 00000000C8B4: BF800000
	v_cndmask_b32_e64 v31, v191, v31, s[92:93]                 // 00000000C8B8: D100001F 01723FBF
	v_add_u32_e32 v181, 64, v180                               // 00000000C8C0: 696B68C0
	v_cmp_lt_u32_e64 s[92:93], v181, v188                      // 00000000C8C4: D0C9005C 000379B5
	s_nop 0                                                    // 00000000C8CC: BF800000
	v_cndmask_b32_e64 v32, v191, v32, s[92:93]                 // 00000000C8D0: D1000020 017241BF
	v_add_u32_e32 v181, 0x41, v180                             // 00000000C8D8: 696B68FF 00000041
	v_cmp_lt_u32_e64 s[92:93], v181, v188                      // 00000000C8E0: D0C9005C 000379B5
	s_nop 0                                                    // 00000000C8E8: BF800000
	v_cndmask_b32_e64 v33, v191, v33, s[92:93]                 // 00000000C8EC: D1000021 017243BF
	v_add_u32_e32 v181, 0x42, v180                             // 00000000C8F4: 696B68FF 00000042
	v_cmp_lt_u32_e64 s[92:93], v181, v188                      // 00000000C8FC: D0C9005C 000379B5
	s_nop 0                                                    // 00000000C904: BF800000
	v_cndmask_b32_e64 v34, v191, v34, s[92:93]                 // 00000000C908: D1000022 017245BF
	v_add_u32_e32 v181, 0x43, v180                             // 00000000C910: 696B68FF 00000043
	v_cmp_lt_u32_e64 s[92:93], v181, v188                      // 00000000C918: D0C9005C 000379B5
	s_nop 0                                                    // 00000000C920: BF800000
	v_cndmask_b32_e64 v35, v191, v35, s[92:93]                 // 00000000C924: D1000023 017247BF
	v_add_u32_e32 v181, 0x80, v180                             // 00000000C92C: 696B68FF 00000080
	v_cmp_lt_u32_e64 s[92:93], v181, v188                      // 00000000C934: D0C9005C 000379B5
	s_nop 0                                                    // 00000000C93C: BF800000
	v_cndmask_b32_e64 v36, v191, v36, s[92:93]                 // 00000000C940: D1000024 017249BF
	v_add_u32_e32 v181, 0x81, v180                             // 00000000C948: 696B68FF 00000081
	v_cmp_lt_u32_e64 s[92:93], v181, v188                      // 00000000C950: D0C9005C 000379B5
	s_nop 0                                                    // 00000000C958: BF800000
	v_cndmask_b32_e64 v37, v191, v37, s[92:93]                 // 00000000C95C: D1000025 01724BBF
	v_add_u32_e32 v181, 0x82, v180                             // 00000000C964: 696B68FF 00000082
	v_cmp_lt_u32_e64 s[92:93], v181, v188                      // 00000000C96C: D0C9005C 000379B5
	s_nop 0                                                    // 00000000C974: BF800000
	v_cndmask_b32_e64 v38, v191, v38, s[92:93]                 // 00000000C978: D1000026 01724DBF
	v_add_u32_e32 v181, 0x83, v180                             // 00000000C980: 696B68FF 00000083
	v_cmp_lt_u32_e64 s[92:93], v181, v188                      // 00000000C988: D0C9005C 000379B5
	s_nop 0                                                    // 00000000C990: BF800000
	v_cndmask_b32_e64 v39, v191, v39, s[92:93]                 // 00000000C994: D1000027 01724FBF
	v_add_u32_e32 v181, 0xc0, v180                             // 00000000C99C: 696B68FF 000000C0
	v_cmp_lt_u32_e64 s[92:93], v181, v188                      // 00000000C9A4: D0C9005C 000379B5
	s_nop 0                                                    // 00000000C9AC: BF800000
	v_cndmask_b32_e64 v40, v191, v40, s[92:93]                 // 00000000C9B0: D1000028 017251BF
	v_add_u32_e32 v181, 0xc1, v180                             // 00000000C9B8: 696B68FF 000000C1
	v_cmp_lt_u32_e64 s[92:93], v181, v188                      // 00000000C9C0: D0C9005C 000379B5
	s_nop 0                                                    // 00000000C9C8: BF800000
	v_cndmask_b32_e64 v41, v191, v41, s[92:93]                 // 00000000C9CC: D1000029 017253BF
	v_add_u32_e32 v181, 0xc2, v180                             // 00000000C9D4: 696B68FF 000000C2
	v_cmp_lt_u32_e64 s[92:93], v181, v188                      // 00000000C9DC: D0C9005C 000379B5
	s_nop 0                                                    // 00000000C9E4: BF800000
	v_cndmask_b32_e64 v42, v191, v42, s[92:93]                 // 00000000C9E8: D100002A 017255BF
	v_add_u32_e32 v181, 0xc3, v180                             // 00000000C9F0: 696B68FF 000000C3
	v_cmp_lt_u32_e64 s[92:93], v181, v188                      // 00000000C9F8: D0C9005C 000379B5
	s_nop 0                                                    // 00000000CA00: BF800000
	v_cndmask_b32_e64 v43, v191, v43, s[92:93]                 // 00000000CA04: D100002B 017257BF
	v_add_u32_e32 v181, 0, v180                                // 00000000CA0C: 696B6880
	v_cmp_lt_u32_e64 s[92:93], v181, v189                      // 00000000CA10: D0C9005C 00037BB5
	s_nop 0                                                    // 00000000CA18: BF800000
	v_cndmask_b32_e64 v44, v191, v44, s[92:93]                 // 00000000CA1C: D100002C 017259BF
	v_add_u32_e32 v181, 1, v180                                // 00000000CA24: 696B6881
	v_cmp_lt_u32_e64 s[92:93], v181, v189                      // 00000000CA28: D0C9005C 00037BB5
	s_nop 0                                                    // 00000000CA30: BF800000
	v_cndmask_b32_e64 v45, v191, v45, s[92:93]                 // 00000000CA34: D100002D 01725BBF
	v_add_u32_e32 v181, 2, v180                                // 00000000CA3C: 696B6882
	v_cmp_lt_u32_e64 s[92:93], v181, v189                      // 00000000CA40: D0C9005C 00037BB5
	s_nop 0                                                    // 00000000CA48: BF800000
	v_cndmask_b32_e64 v46, v191, v46, s[92:93]                 // 00000000CA4C: D100002E 01725DBF
	v_add_u32_e32 v181, 3, v180                                // 00000000CA54: 696B6883
	v_cmp_lt_u32_e64 s[92:93], v181, v189                      // 00000000CA58: D0C9005C 00037BB5
	s_nop 0                                                    // 00000000CA60: BF800000
	v_cndmask_b32_e64 v47, v191, v47, s[92:93]                 // 00000000CA64: D100002F 01725FBF
	v_add_u32_e32 v181, 64, v180                               // 00000000CA6C: 696B68C0
	v_cmp_lt_u32_e64 s[92:93], v181, v189                      // 00000000CA70: D0C9005C 00037BB5
	s_nop 0                                                    // 00000000CA78: BF800000
	v_cndmask_b32_e64 v48, v191, v48, s[92:93]                 // 00000000CA7C: D1000030 017261BF
	v_add_u32_e32 v181, 0x41, v180                             // 00000000CA84: 696B68FF 00000041
	v_cmp_lt_u32_e64 s[92:93], v181, v189                      // 00000000CA8C: D0C9005C 00037BB5
	s_nop 0                                                    // 00000000CA94: BF800000
	v_cndmask_b32_e64 v49, v191, v49, s[92:93]                 // 00000000CA98: D1000031 017263BF
	v_add_u32_e32 v181, 0x42, v180                             // 00000000CAA0: 696B68FF 00000042
	v_cmp_lt_u32_e64 s[92:93], v181, v189                      // 00000000CAA8: D0C9005C 00037BB5
	s_nop 0                                                    // 00000000CAB0: BF800000
	v_cndmask_b32_e64 v50, v191, v50, s[92:93]                 // 00000000CAB4: D1000032 017265BF
	v_add_u32_e32 v181, 0x43, v180                             // 00000000CABC: 696B68FF 00000043
	v_cmp_lt_u32_e64 s[92:93], v181, v189                      // 00000000CAC4: D0C9005C 00037BB5
	s_nop 0                                                    // 00000000CACC: BF800000
	v_cndmask_b32_e64 v51, v191, v51, s[92:93]                 // 00000000CAD0: D1000033 017267BF
	v_add_u32_e32 v181, 0x80, v180                             // 00000000CAD8: 696B68FF 00000080
	v_cmp_lt_u32_e64 s[92:93], v181, v189                      // 00000000CAE0: D0C9005C 00037BB5
	s_nop 0                                                    // 00000000CAE8: BF800000
	v_cndmask_b32_e64 v52, v191, v52, s[92:93]                 // 00000000CAEC: D1000034 017269BF
	v_add_u32_e32 v181, 0x81, v180                             // 00000000CAF4: 696B68FF 00000081
	v_cmp_lt_u32_e64 s[92:93], v181, v189                      // 00000000CAFC: D0C9005C 00037BB5
	s_nop 0                                                    // 00000000CB04: BF800000
	v_cndmask_b32_e64 v53, v191, v53, s[92:93]                 // 00000000CB08: D1000035 01726BBF
	v_add_u32_e32 v181, 0x82, v180                             // 00000000CB10: 696B68FF 00000082
	v_cmp_lt_u32_e64 s[92:93], v181, v189                      // 00000000CB18: D0C9005C 00037BB5
	s_nop 0                                                    // 00000000CB20: BF800000
	v_cndmask_b32_e64 v54, v191, v54, s[92:93]                 // 00000000CB24: D1000036 01726DBF
	v_add_u32_e32 v181, 0x83, v180                             // 00000000CB2C: 696B68FF 00000083
	v_cmp_lt_u32_e64 s[92:93], v181, v189                      // 00000000CB34: D0C9005C 00037BB5
	s_nop 0                                                    // 00000000CB3C: BF800000
	v_cndmask_b32_e64 v55, v191, v55, s[92:93]                 // 00000000CB40: D1000037 01726FBF
	v_add_u32_e32 v181, 0xc0, v180                             // 00000000CB48: 696B68FF 000000C0
	v_cmp_lt_u32_e64 s[92:93], v181, v189                      // 00000000CB50: D0C9005C 00037BB5
	s_nop 0                                                    // 00000000CB58: BF800000
	v_cndmask_b32_e64 v56, v191, v56, s[92:93]                 // 00000000CB5C: D1000038 017271BF
	v_add_u32_e32 v181, 0xc1, v180                             // 00000000CB64: 696B68FF 000000C1
	v_cmp_lt_u32_e64 s[92:93], v181, v189                      // 00000000CB6C: D0C9005C 00037BB5
	s_nop 0                                                    // 00000000CB74: BF800000
	v_cndmask_b32_e64 v57, v191, v57, s[92:93]                 // 00000000CB78: D1000039 017273BF
	v_add_u32_e32 v181, 0xc2, v180                             // 00000000CB80: 696B68FF 000000C2
	v_cmp_lt_u32_e64 s[92:93], v181, v189                      // 00000000CB88: D0C9005C 00037BB5
	s_nop 0                                                    // 00000000CB90: BF800000
	v_cndmask_b32_e64 v58, v191, v58, s[92:93]                 // 00000000CB94: D100003A 017275BF
	v_add_u32_e32 v181, 0xc3, v180                             // 00000000CB9C: 696B68FF 000000C3
	v_cmp_lt_u32_e64 s[92:93], v181, v189                      // 00000000CBA4: D0C9005C 00037BB5
	s_nop 0                                                    // 00000000CBAC: BF800000
	v_cndmask_b32_e64 v59, v191, v59, s[92:93]                 // 00000000CBB0: D100003B 017277BF
	v_mov_b32_e32 v146, v28                                    // 00000000CBB8: 7F24031C
	v_max3_f32 v146, v28, v29, v146                            // 00000000CBBC: D1D30092 064A3B1C
	v_max3_f32 v146, v30, v31, v146                            // 00000000CBC4: D1D30092 064A3F1E
	v_max3_f32 v146, v32, v33, v146                            // 00000000CBCC: D1D30092 064A4320
	v_max3_f32 v146, v34, v35, v146                            // 00000000CBD4: D1D30092 064A4722
	v_max3_f32 v146, v36, v37, v146                            // 00000000CBDC: D1D30092 064A4B24
	v_max3_f32 v146, v38, v39, v146                            // 00000000CBE4: D1D30092 064A4F26
	v_max3_f32 v146, v40, v41, v146                            // 00000000CBEC: D1D30092 064A5328
	v_max3_f32 v146, v42, v43, v146                            // 00000000CBF4: D1D30092 064A572A
	v_mov_b32_e32 v147, v44                                    // 00000000CBFC: 7F26032C
	v_max3_f32 v147, v44, v45, v147                            // 00000000CC00: D1D30093 064E5B2C
	v_max3_f32 v147, v46, v47, v147                            // 00000000CC08: D1D30093 064E5F2E
	v_max3_f32 v147, v48, v49, v147                            // 00000000CC10: D1D30093 064E6330
	v_max3_f32 v147, v50, v51, v147                            // 00000000CC18: D1D30093 064E6732
	v_max3_f32 v147, v52, v53, v147                            // 00000000CC20: D1D30093 064E6B34
	v_max3_f32 v147, v54, v55, v147                            // 00000000CC28: D1D30093 064E6F36
	v_max3_f32 v147, v56, v57, v147                            // 00000000CC30: D1D30093 064E7338
	v_max3_f32 v147, v58, v59, v147                            // 00000000CC38: D1D30093 064E773A
	ds_write_b64 v210, v[146:147]                              // 00000000CC40: D89A0000 000092D2
	v_pk_mul_f32 v[108:109], v[140:141], v[108:109]            // 00000000CC48: D3B1406C 1802D98C
	v_pk_mul_f32 v[110:111], v[140:141], v[110:111]            // 00000000CC50: D3B1406E 1802DD8C
	v_pk_mul_f32 v[112:113], v[140:141], v[112:113]            // 00000000CC58: D3B14070 1802E18C
	v_pk_mul_f32 v[114:115], v[140:141], v[114:115]            // 00000000CC60: D3B14072 1802E58C
	v_pk_mul_f32 v[116:117], v[142:143], v[116:117]            // 00000000CC68: D3B14074 1802E98E
	v_pk_mul_f32 v[118:119], v[142:143], v[118:119]            // 00000000CC70: D3B14076 1802ED8E
	v_pk_mul_f32 v[120:121], v[142:143], v[120:121]            // 00000000CC78: D3B14078 1802F18E
	v_pk_mul_f32 v[122:123], v[142:143], v[122:123]            // 00000000CC80: D3B1407A 1802F58E
	s_waitcnt lgkmcnt(0)                                       // 00000000CC88: BF8CC07F
	s_barrier                                                  // 00000000CC8C: BF8A0000
	ds_read_b64 v[148:149], v211                               // 00000000CC90: D8EC0000 940000D3
	ds_read_b64 v[150:151], v211 offset:128                    // 00000000CC98: D8EC0080 960000D3
	ds_read_b64 v[152:153], v211 offset:256                    // 00000000CCA0: D8EC0100 980000D3
	ds_read_b64 v[154:155], v211 offset:384                    // 00000000CCA8: D8EC0180 9A0000D3
	ds_read_b64 v[156:157], v211 offset:512                    // 00000000CCB0: D8EC0200 9C0000D3
	ds_read_b64 v[158:159], v211 offset:640                    // 00000000CCB8: D8EC0280 9E0000D3
	ds_read_b64 v[160:161], v211 offset:768                    // 00000000CCC0: D8EC0300 A00000D3
	ds_read_b64 v[162:163], v211 offset:896                    // 00000000CCC8: D8EC0380 A20000D3
	ds_read_b64 v[164:165], v211 offset:1024                   // 00000000CCD0: D8EC0400 A40000D3
	ds_read_b64 v[166:167], v211 offset:1152                   // 00000000CCD8: D8EC0480 A60000D3
	ds_read_b64 v[168:169], v211 offset:1280                   // 00000000CCE0: D8EC0500 A80000D3
	ds_read_b64 v[170:171], v211 offset:1408                   // 00000000CCE8: D8EC0580 AA0000D3
	ds_read_b64 v[172:173], v211 offset:1536                   // 00000000CCF0: D8EC0600 AC0000D3
	ds_read_b64 v[174:175], v211 offset:1664                   // 00000000CCF8: D8EC0680 AE0000D3
	ds_read_b64 v[176:177], v211 offset:1792                   // 00000000CD00: D8EC0700 B00000D3
	ds_read_b64 v[178:179], v211 offset:1920                   // 00000000CD08: D8EC0780 B20000D3
	v_pk_mul_f32 v[92:93], v[132:133], v[92:93]                // 00000000CD10: D3B1405C 1802B984
	v_pk_mul_f32 v[94:95], v[132:133], v[94:95]                // 00000000CD18: D3B1405E 1802BD84
	v_pk_mul_f32 v[96:97], v[132:133], v[96:97]                // 00000000CD20: D3B14060 1802C184
	v_pk_mul_f32 v[98:99], v[132:133], v[98:99]                // 00000000CD28: D3B14062 1802C584
	v_pk_mul_f32 v[100:101], v[134:135], v[100:101]            // 00000000CD30: D3B14064 1802C986
	v_pk_mul_f32 v[102:103], v[134:135], v[102:103]            // 00000000CD38: D3B14066 1802CD86
	v_pk_mul_f32 v[104:105], v[134:135], v[104:105]            // 00000000CD40: D3B14068 1802D186
	v_pk_mul_f32 v[106:107], v[134:135], v[106:107]            // 00000000CD48: D3B1406A 1802D586
	s_waitcnt lgkmcnt(0)                                       // 00000000CD50: BF8CC07F
	v_max3_f32 v146, v148, v150, v146                          // 00000000CD54: D1D30092 064B2D94
	v_max3_f32 v147, v149, v151, v147                          // 00000000CD5C: D1D30093 064F2F95
	v_max3_f32 v146, v152, v154, v146                          // 00000000CD64: D1D30092 064B3598
	v_max3_f32 v147, v153, v155, v147                          // 00000000CD6C: D1D30093 064F3799
	v_max3_f32 v146, v156, v158, v146                          // 00000000CD74: D1D30092 064B3D9C
	v_max3_f32 v147, v157, v159, v147                          // 00000000CD7C: D1D30093 064F3F9D
	v_max3_f32 v146, v160, v162, v146                          // 00000000CD84: D1D30092 064B45A0
	v_max3_f32 v147, v161, v163, v147                          // 00000000CD8C: D1D30093 064F47A1
	v_max3_f32 v146, v164, v166, v146                          // 00000000CD94: D1D30092 064B4DA4
	v_max3_f32 v147, v165, v167, v147                          // 00000000CD9C: D1D30093 064F4FA5
	v_max3_f32 v146, v168, v170, v146                          // 00000000CDA4: D1D30092 064B55A8
	v_max3_f32 v147, v169, v171, v147                          // 00000000CDAC: D1D30093 064F57A9
	v_max3_f32 v146, v172, v174, v146                          // 00000000CDB4: D1D30092 064B5DAC
	v_max3_f32 v147, v173, v175, v147                          // 00000000CDBC: D1D30093 064F5FAD
	v_max3_f32 v146, v176, v178, v146                          // 00000000CDC4: D1D30092 064B65B0
	v_max3_f32 v147, v177, v179, v147                          // 00000000CDCC: D1D30093 064F67B1
	v_max_f32_e32 v138, v146, v136                             // 00000000CDD4: 17151192
	v_mul_f32_e64 v180, -s51, v138                             // 00000000CDD8: D10500B4 20031433
	v_mov_b32_e32 v181, v180                                   // 00000000CDE0: 7F6A03B4
	v_pk_fma_f32 v[28:29], v[28:29], s[68:69], v[180:181]      // 00000000CDE4: D3B0401C 1ED0891C
	v_pk_fma_f32 v[30:31], v[30:31], s[68:69], v[180:181]      // 00000000CDEC: D3B0401E 1ED0891E
	v_exp_f32_e32 v28, v28                                     // 00000000CDF4: 7E38411C
	v_exp_f32_e32 v29, v29                                     // 00000000CDF8: 7E3A411D
	v_exp_f32_e32 v30, v30                                     // 00000000CDFC: 7E3C411E
	v_exp_f32_e32 v31, v31                                     // 00000000CE00: 7E3E411F
	v_pk_fma_f32 v[32:33], v[32:33], s[68:69], v[180:181]      // 00000000CE04: D3B04020 1ED08920
	v_pk_fma_f32 v[34:35], v[34:35], s[68:69], v[180:181]      // 00000000CE0C: D3B04022 1ED08922
	v_exp_f32_e32 v32, v32                                     // 00000000CE14: 7E404120
	v_exp_f32_e32 v33, v33                                     // 00000000CE18: 7E424121
	v_exp_f32_e32 v34, v34                                     // 00000000CE1C: 7E444122
	v_exp_f32_e32 v35, v35                                     // 00000000CE20: 7E464123
	v_pk_fma_f32 v[36:37], v[36:37], s[68:69], v[180:181]      // 00000000CE24: D3B04024 1ED08924
	v_pk_fma_f32 v[38:39], v[38:39], s[68:69], v[180:181]      // 00000000CE2C: D3B04026 1ED08926
	v_exp_f32_e32 v36, v36                                     // 00000000CE34: 7E484124
	v_exp_f32_e32 v37, v37                                     // 00000000CE38: 7E4A4125
	v_exp_f32_e32 v38, v38                                     // 00000000CE3C: 7E4C4126
	v_exp_f32_e32 v39, v39                                     // 00000000CE40: 7E4E4127
	v_pk_fma_f32 v[40:41], v[40:41], s[68:69], v[180:181]      // 00000000CE44: D3B04028 1ED08928
	v_pk_fma_f32 v[42:43], v[42:43], s[68:69], v[180:181]      // 00000000CE4C: D3B0402A 1ED0892A
	v_exp_f32_e32 v40, v40                                     // 00000000CE54: 7E504128
	v_exp_f32_e32 v41, v41                                     // 00000000CE58: 7E524129
	v_exp_f32_e32 v42, v42                                     // 00000000CE5C: 7E54412A
	v_exp_f32_e32 v43, v43                                     // 00000000CE60: 7E56412B
	v_max_f32_e32 v139, v147, v137                             // 00000000CE64: 17171393
	v_mul_f32_e64 v180, -s51, v139                             // 00000000CE68: D10500B4 20031633
	v_mov_b32_e32 v181, v180                                   // 00000000CE70: 7F6A03B4
	v_pk_fma_f32 v[44:45], v[44:45], s[68:69], v[180:181]      // 00000000CE74: D3B0402C 1ED0892C
	v_pk_fma_f32 v[46:47], v[46:47], s[68:69], v[180:181]      // 00000000CE7C: D3B0402E 1ED0892E
	v_exp_f32_e32 v44, v44                                     // 00000000CE84: 7E58412C
	v_exp_f32_e32 v45, v45                                     // 00000000CE88: 7E5A412D
	v_exp_f32_e32 v46, v46                                     // 00000000CE8C: 7E5C412E
	v_exp_f32_e32 v47, v47                                     // 00000000CE90: 7E5E412F
	v_pk_fma_f32 v[48:49], v[48:49], s[68:69], v[180:181]      // 00000000CE94: D3B04030 1ED08930
	v_pk_fma_f32 v[50:51], v[50:51], s[68:69], v[180:181]      // 00000000CE9C: D3B04032 1ED08932
	v_exp_f32_e32 v48, v48                                     // 00000000CEA4: 7E604130
	v_exp_f32_e32 v49, v49                                     // 00000000CEA8: 7E624131
	v_exp_f32_e32 v50, v50                                     // 00000000CEAC: 7E644132
	v_exp_f32_e32 v51, v51                                     // 00000000CEB0: 7E664133
	v_pk_fma_f32 v[52:53], v[52:53], s[68:69], v[180:181]      // 00000000CEB4: D3B04034 1ED08934
	v_pk_fma_f32 v[54:55], v[54:55], s[68:69], v[180:181]      // 00000000CEBC: D3B04036 1ED08936
	v_exp_f32_e32 v52, v52                                     // 00000000CEC4: 7E684134
	v_exp_f32_e32 v53, v53                                     // 00000000CEC8: 7E6A4135
	v_exp_f32_e32 v54, v54                                     // 00000000CECC: 7E6C4136
	v_exp_f32_e32 v55, v55                                     // 00000000CED0: 7E6E4137
	v_pk_fma_f32 v[56:57], v[56:57], s[68:69], v[180:181]      // 00000000CED4: D3B04038 1ED08938
	v_pk_fma_f32 v[58:59], v[58:59], s[68:69], v[180:181]      // 00000000CEDC: D3B0403A 1ED0893A
	v_exp_f32_e32 v56, v56                                     // 00000000CEE4: 7E704138
	v_exp_f32_e32 v57, v57                                     // 00000000CEE8: 7E724139
	v_exp_f32_e32 v58, v58                                     // 00000000CEEC: 7E74413A
	v_exp_f32_e32 v59, v59                                     // 00000000CEF0: 7E76413B
	v_mul_f32_dpp v60, v131, v28 row_newbcast:0 row_mask:0xf bank_mask:0xf// 00000000CEF4: 0A7838FA FF015083
	v_mul_f32_dpp v61, v131, v29 row_newbcast:1 row_mask:0xf bank_mask:0xf// 00000000CEFC: 0A7A3AFA FF015183
	v_mul_f32_dpp v62, v131, v30 row_newbcast:2 row_mask:0xf bank_mask:0xf// 00000000CF04: 0A7C3CFA FF015283
	v_mul_f32_dpp v63, v131, v31 row_newbcast:3 row_mask:0xf bank_mask:0xf// 00000000CF0C: 0A7E3EFA FF015383
	v_mul_f32_dpp v64, v131, v32 row_newbcast:4 row_mask:0xf bank_mask:0xf// 00000000CF14: 0A8040FA FF015483
	v_mul_f32_dpp v65, v131, v33 row_newbcast:5 row_mask:0xf bank_mask:0xf// 00000000CF1C: 0A8242FA FF015583
	v_mul_f32_dpp v66, v131, v34 row_newbcast:6 row_mask:0xf bank_mask:0xf// 00000000CF24: 0A8444FA FF015683
	v_mul_f32_dpp v67, v131, v35 row_newbcast:7 row_mask:0xf bank_mask:0xf// 00000000CF2C: 0A8646FA FF015783
	v_mul_f32_dpp v68, v131, v36 row_newbcast:8 row_mask:0xf bank_mask:0xf// 00000000CF34: 0A8848FA FF015883
	v_mul_f32_dpp v69, v131, v37 row_newbcast:9 row_mask:0xf bank_mask:0xf// 00000000CF3C: 0A8A4AFA FF015983
	v_mul_f32_dpp v70, v131, v38 row_newbcast:10 row_mask:0xf bank_mask:0xf// 00000000CF44: 0A8C4CFA FF015A83
	v_mul_f32_dpp v71, v131, v39 row_newbcast:11 row_mask:0xf bank_mask:0xf// 00000000CF4C: 0A8E4EFA FF015B83
	v_mul_f32_dpp v72, v131, v40 row_newbcast:12 row_mask:0xf bank_mask:0xf// 00000000CF54: 0A9050FA FF015C83
	v_mul_f32_dpp v73, v131, v41 row_newbcast:13 row_mask:0xf bank_mask:0xf// 00000000CF5C: 0A9252FA FF015D83
	v_mul_f32_dpp v74, v131, v42 row_newbcast:14 row_mask:0xf bank_mask:0xf// 00000000CF64: 0A9454FA FF015E83
	v_mul_f32_dpp v75, v131, v43 row_newbcast:15 row_mask:0xf bank_mask:0xf// 00000000CF6C: 0A9656FA FF015F83
	v_mul_f32_dpp v76, v131, v44 row_newbcast:0 row_mask:0xf bank_mask:0xf// 00000000CF74: 0A9858FA FF015083
	v_mul_f32_dpp v77, v131, v45 row_newbcast:1 row_mask:0xf bank_mask:0xf// 00000000CF7C: 0A9A5AFA FF015183
	v_mul_f32_dpp v78, v131, v46 row_newbcast:2 row_mask:0xf bank_mask:0xf// 00000000CF84: 0A9C5CFA FF015283
	v_mul_f32_dpp v79, v131, v47 row_newbcast:3 row_mask:0xf bank_mask:0xf// 00000000CF8C: 0A9E5EFA FF015383
	v_mul_f32_dpp v80, v131, v48 row_newbcast:4 row_mask:0xf bank_mask:0xf// 00000000CF94: 0AA060FA FF015483
	v_mul_f32_dpp v81, v131, v49 row_newbcast:5 row_mask:0xf bank_mask:0xf// 00000000CF9C: 0AA262FA FF015583
	v_mul_f32_dpp v82, v131, v50 row_newbcast:6 row_mask:0xf bank_mask:0xf// 00000000CFA4: 0AA464FA FF015683
	v_mul_f32_dpp v83, v131, v51 row_newbcast:7 row_mask:0xf bank_mask:0xf// 00000000CFAC: 0AA666FA FF015783
	v_mul_f32_dpp v84, v131, v52 row_newbcast:8 row_mask:0xf bank_mask:0xf// 00000000CFB4: 0AA868FA FF015883
	v_mul_f32_dpp v85, v131, v53 row_newbcast:9 row_mask:0xf bank_mask:0xf// 00000000CFBC: 0AAA6AFA FF015983
	v_mul_f32_dpp v86, v131, v54 row_newbcast:10 row_mask:0xf bank_mask:0xf// 00000000CFC4: 0AAC6CFA FF015A83
	v_mul_f32_dpp v87, v131, v55 row_newbcast:11 row_mask:0xf bank_mask:0xf// 00000000CFCC: 0AAE6EFA FF015B83
	v_mul_f32_dpp v88, v131, v56 row_newbcast:12 row_mask:0xf bank_mask:0xf// 00000000CFD4: 0AB070FA FF015C83
	v_mul_f32_dpp v89, v131, v57 row_newbcast:13 row_mask:0xf bank_mask:0xf// 00000000CFDC: 0AB272FA FF015D83
	v_mul_f32_dpp v90, v131, v58 row_newbcast:14 row_mask:0xf bank_mask:0xf// 00000000CFE4: 0AB474FA FF015E83
	v_mul_f32_dpp v91, v131, v59 row_newbcast:15 row_mask:0xf bank_mask:0xf// 00000000CFEC: 0AB676FA FF015F83
	v_mov_b32_e32 v146, 0x358637bd                             // 00000000CFF4: 7F2402FF 358637BD
	v_max3_f32 v146, |v60|, |v61|, v146                        // 00000000CFFC: D1D30392 064A7B3C
	v_max3_f32 v146, |v62|, |v63|, v146                        // 00000000D004: D1D30392 064A7F3E
	v_max3_f32 v146, |v64|, |v65|, v146                        // 00000000D00C: D1D30392 064A8340
	v_max3_f32 v146, |v66|, |v67|, v146                        // 00000000D014: D1D30392 064A8742
	v_max3_f32 v146, |v68|, |v69|, v146                        // 00000000D01C: D1D30392 064A8B44
	v_max3_f32 v146, |v70|, |v71|, v146                        // 00000000D024: D1D30392 064A8F46
	v_max3_f32 v146, |v72|, |v73|, v146                        // 00000000D02C: D1D30392 064A9348
	v_max3_f32 v146, |v74|, |v75|, v146                        // 00000000D034: D1D30392 064A974A
	v_mov_b32_e32 v147, 0x358637bd                             // 00000000D03C: 7F2602FF 358637BD
	v_max3_f32 v147, |v76|, |v77|, v147                        // 00000000D044: D1D30393 064E9B4C
	v_max3_f32 v147, |v78|, |v79|, v147                        // 00000000D04C: D1D30393 064E9F4E
	v_max3_f32 v147, |v80|, |v81|, v147                        // 00000000D054: D1D30393 064EA350
	v_max3_f32 v147, |v82|, |v83|, v147                        // 00000000D05C: D1D30393 064EA752
	v_max3_f32 v147, |v84|, |v85|, v147                        // 00000000D064: D1D30393 064EAB54
	v_max3_f32 v147, |v86|, |v87|, v147                        // 00000000D06C: D1D30393 064EAF56
	v_max3_f32 v147, |v88|, |v89|, v147                        // 00000000D074: D1D30393 064EB358
	v_max3_f32 v147, |v90|, |v91|, v147                        // 00000000D07C: D1D30393 064EB75A
	ds_write_b64 v210, v[146:147] offset:2304                  // 00000000D084: D89A0900 000092D2
	buffer_load_dword v128, v202, s[28:31], 0 offen            // 00000000D08C: E0501000 800780CA
	v_sub_f32_e32 v140, v136, v138                             // 00000000D094: 05191588
	v_cmp_eq_u32_e64 s[92:93], v191, v136                      // 00000000D098: D0CA005C 000311BF
	s_nop 0                                                    // 00000000D0A0: BF800000
	v_cndmask_b32_e64 v140, v140, 0, s[92:93]                  // 00000000D0A4: D100008C 0171018C
	v_mov_b32_e32 v136, v138                                   // 00000000D0AC: 7F10038A
	v_mul_f32_e32 v140, s51, v140                              // 00000000D0B0: 0B191833
	v_exp_f32_e32 v140, v140                                   // 00000000D0B4: 7F18418C
	v_sub_f32_e32 v142, v137, v139                             // 00000000D0B8: 051D1789
	v_cmp_eq_u32_e64 s[92:93], v191, v137                      // 00000000D0BC: D0CA005C 000313BF
	s_nop 0                                                    // 00000000D0C4: BF800000
	v_cndmask_b32_e64 v142, v142, 0, s[92:93]                  // 00000000D0C8: D100008E 0171018E
	v_mov_b32_e32 v137, v139                                   // 00000000D0D0: 7F12038B
	v_mul_f32_e32 v142, s51, v142                              // 00000000D0D4: 0B1D1C33
	v_exp_f32_e32 v142, v142                                   // 00000000D0D8: 7F1C418E
	v_mov_b32_e32 v141, v140                                   // 00000000D0DC: 7F1A038C
	v_mov_b32_e32 v143, v142                                   // 00000000D0E0: 7F1E038E
	buffer_load_dword v130, v203, s[32:35], 0 offen            // 00000000D0E4: E0501000 800882CB
	s_waitcnt lgkmcnt(0)                                       // 00000000D0EC: BF8CC07F
	s_barrier                                                  // 00000000D0F0: BF8A0000
	ds_read_b64 v[148:149], v211 offset:2304                   // 00000000D0F4: D8EC0900 940000D3
	ds_read_b64 v[150:151], v211 offset:2432                   // 00000000D0FC: D8EC0980 960000D3
	ds_read_b64 v[152:153], v211 offset:2560                   // 00000000D104: D8EC0A00 980000D3
	ds_read_b64 v[154:155], v211 offset:2688                   // 00000000D10C: D8EC0A80 9A0000D3
	ds_read_b64 v[156:157], v211 offset:2816                   // 00000000D114: D8EC0B00 9C0000D3
	ds_read_b64 v[158:159], v211 offset:2944                   // 00000000D11C: D8EC0B80 9E0000D3
	ds_read_b64 v[160:161], v211 offset:3072                   // 00000000D124: D8EC0C00 A00000D3
	ds_read_b64 v[162:163], v211 offset:3200                   // 00000000D12C: D8EC0C80 A20000D3
	ds_read_b64 v[164:165], v211 offset:3328                   // 00000000D134: D8EC0D00 A40000D3
	ds_read_b64 v[166:167], v211 offset:3456                   // 00000000D13C: D8EC0D80 A60000D3
	ds_read_b64 v[168:169], v211 offset:3584                   // 00000000D144: D8EC0E00 A80000D3
	ds_read_b64 v[170:171], v211 offset:3712                   // 00000000D14C: D8EC0E80 AA0000D3
	ds_read_b64 v[172:173], v211 offset:3840                   // 00000000D154: D8EC0F00 AC0000D3
	ds_read_b64 v[174:175], v211 offset:3968                   // 00000000D15C: D8EC0F80 AE0000D3
	ds_read_b64 v[176:177], v211 offset:4096                   // 00000000D164: D8EC1000 B00000D3
	ds_read_b64 v[178:179], v211 offset:4224                   // 00000000D16C: D8EC1080 B20000D3
	v_mul_f32_e32 v144, v140, v144                             // 00000000D174: 0B21218C
	v_add_f32_e32 v144, v28, v144                              // 00000000D178: 0321211C
	v_add_f32_e32 v144, v29, v144                              // 00000000D17C: 0321211D
	v_add_f32_e32 v144, v30, v144                              // 00000000D180: 0321211E
	v_add_f32_e32 v144, v31, v144                              // 00000000D184: 0321211F
	v_add_f32_e32 v144, v32, v144                              // 00000000D188: 03212120
	v_add_f32_e32 v144, v33, v144                              // 00000000D18C: 03212121
	v_add_f32_e32 v144, v34, v144                              // 00000000D190: 03212122
	v_add_f32_e32 v144, v35, v144                              // 00000000D194: 03212123
	v_add_f32_e32 v144, v36, v144                              // 00000000D198: 03212124
	v_add_f32_e32 v144, v37, v144                              // 00000000D19C: 03212125
	v_add_f32_e32 v144, v38, v144                              // 00000000D1A0: 03212126
	v_add_f32_e32 v144, v39, v144                              // 00000000D1A4: 03212127
	v_add_f32_e32 v144, v40, v144                              // 00000000D1A8: 03212128
	v_add_f32_e32 v144, v41, v144                              // 00000000D1AC: 03212129
	v_add_f32_e32 v144, v42, v144                              // 00000000D1B0: 0321212A
	v_add_f32_e32 v144, v43, v144                              // 00000000D1B4: 0321212B
	v_mul_f32_e32 v145, v142, v145                             // 00000000D1B8: 0B23238E
	v_add_f32_e32 v145, v44, v145                              // 00000000D1BC: 0323232C
	v_add_f32_e32 v145, v45, v145                              // 00000000D1C0: 0323232D
	v_add_f32_e32 v145, v46, v145                              // 00000000D1C4: 0323232E
	v_add_f32_e32 v145, v47, v145                              // 00000000D1C8: 0323232F
	v_add_f32_e32 v145, v48, v145                              // 00000000D1CC: 03232330
	v_add_f32_e32 v145, v49, v145                              // 00000000D1D0: 03232331
	v_add_f32_e32 v145, v50, v145                              // 00000000D1D4: 03232332
	v_add_f32_e32 v145, v51, v145                              // 00000000D1D8: 03232333
	v_add_f32_e32 v145, v52, v145                              // 00000000D1DC: 03232334
	v_add_f32_e32 v145, v53, v145                              // 00000000D1E0: 03232335
	v_add_f32_e32 v145, v54, v145                              // 00000000D1E4: 03232336
	v_add_f32_e32 v145, v55, v145                              // 00000000D1E8: 03232337
	v_add_f32_e32 v145, v56, v145                              // 00000000D1EC: 03232338
	v_add_f32_e32 v145, v57, v145                              // 00000000D1F0: 03232339
	v_add_f32_e32 v145, v58, v145                              // 00000000D1F4: 0323233A
	v_add_f32_e32 v145, v59, v145                              // 00000000D1F8: 0323233B
	s_waitcnt lgkmcnt(0)                                       // 00000000D1FC: BF8CC07F
	v_max3_f32 v146, v148, v150, v146                          // 00000000D200: D1D30092 064B2D94
	v_max3_f32 v147, v149, v151, v147                          // 00000000D208: D1D30093 064F2F95
	v_max3_f32 v146, v152, v154, v146                          // 00000000D210: D1D30092 064B3598
	v_max3_f32 v147, v153, v155, v147                          // 00000000D218: D1D30093 064F3799
	v_max3_f32 v146, v156, v158, v146                          // 00000000D220: D1D30092 064B3D9C
	v_max3_f32 v147, v157, v159, v147                          // 00000000D228: D1D30093 064F3F9D
	v_max3_f32 v146, v160, v162, v146                          // 00000000D230: D1D30092 064B45A0
	v_max3_f32 v147, v161, v163, v147                          // 00000000D238: D1D30093 064F47A1
	v_max3_f32 v146, v164, v166, v146                          // 00000000D240: D1D30092 064B4DA4
	v_max3_f32 v147, v165, v167, v147                          // 00000000D248: D1D30093 064F4FA5
	v_max3_f32 v146, v168, v170, v146                          // 00000000D250: D1D30092 064B55A8
	v_max3_f32 v147, v169, v171, v147                          // 00000000D258: D1D30093 064F57A9
	v_max3_f32 v146, v172, v174, v146                          // 00000000D260: D1D30092 064B5DAC
	v_max3_f32 v147, v173, v175, v147                          // 00000000D268: D1D30093 064F5FAD
	v_max3_f32 v146, v176, v178, v146                          // 00000000D270: D1D30092 064B65B0
	v_max3_f32 v147, v177, v179, v147                          // 00000000D278: D1D30093 064F67B1
	v_rcp_f32_e32 v146, v146                                   // 00000000D280: 7F244592
	v_rcp_f32_e32 v147, v147                                   // 00000000D284: 7F264593
	v_mul_f32_e32 v146, 0x43700000, v146                       // 00000000D288: 0B2524FF 43700000
	v_mul_f32_e32 v147, 0x43700000, v147                       // 00000000D290: 0B2726FF 43700000
	v_mul_f32_e32 v28, v146, v60                               // 00000000D298: 0A387992
	v_mul_f32_e32 v29, v146, v61                               // 00000000D29C: 0A3A7B92
	v_mul_f32_e32 v30, v146, v62                               // 00000000D2A0: 0A3C7D92
	v_mul_f32_e32 v31, v146, v63                               // 00000000D2A4: 0A3E7F92
	v_mul_f32_e32 v32, v146, v64                               // 00000000D2A8: 0A408192
	v_mul_f32_e32 v33, v146, v65                               // 00000000D2AC: 0A428392
	v_mul_f32_e32 v34, v146, v66                               // 00000000D2B0: 0A448592
	v_mul_f32_e32 v35, v146, v67                               // 00000000D2B4: 0A468792
	v_mul_f32_e32 v36, v146, v68                               // 00000000D2B8: 0A488992
	v_mul_f32_e32 v37, v146, v69                               // 00000000D2BC: 0A4A8B92
	v_mul_f32_e32 v38, v146, v70                               // 00000000D2C0: 0A4C8D92
	v_mul_f32_e32 v39, v146, v71                               // 00000000D2C4: 0A4E8F92
	v_mul_f32_e32 v40, v146, v72                               // 00000000D2C8: 0A509192
	v_mul_f32_e32 v41, v146, v73                               // 00000000D2CC: 0A529392
	v_mul_f32_e32 v42, v146, v74                               // 00000000D2D0: 0A549592
	v_mul_f32_e32 v43, v146, v75                               // 00000000D2D4: 0A569792
	v_mul_f32_e32 v44, v147, v76                               // 00000000D2D8: 0A589993
	v_mul_f32_e32 v45, v147, v77                               // 00000000D2DC: 0A5A9B93
	v_mul_f32_e32 v46, v147, v78                               // 00000000D2E0: 0A5C9D93
	v_mul_f32_e32 v47, v147, v79                               // 00000000D2E4: 0A5E9F93
	v_mul_f32_e32 v48, v147, v80                               // 00000000D2E8: 0A60A193
	v_mul_f32_e32 v49, v147, v81                               // 00000000D2EC: 0A62A393
	v_mul_f32_e32 v50, v147, v82                               // 00000000D2F0: 0A64A593
	v_mul_f32_e32 v51, v147, v83                               // 00000000D2F4: 0A66A793
	v_mul_f32_e32 v52, v147, v84                               // 00000000D2F8: 0A68A993
	v_mul_f32_e32 v53, v147, v85                               // 00000000D2FC: 0A6AAB93
	v_mul_f32_e32 v54, v147, v86                               // 00000000D300: 0A6CAD93
	v_mul_f32_e32 v55, v147, v87                               // 00000000D304: 0A6EAF93
	v_mul_f32_e32 v56, v147, v88                               // 00000000D308: 0A70B193
	v_mul_f32_e32 v57, v147, v89                               // 00000000D30C: 0A72B393
	v_mul_f32_e32 v58, v147, v90                               // 00000000D310: 0A74B593
	v_mul_f32_e32 v59, v147, v91                               // 00000000D314: 0A76B793
	v_cvt_pk_fp8_f32 v28, v28, v29                             // 00000000D318: D2A2001C 00023B1C
	v_cvt_pk_fp8_f32 v28, v30, v31 op_sel:[0,0,1]              // 00000000D320: D2A2401C 00023F1E
	v_cvt_pk_fp8_f32 v29, v32, v33                             // 00000000D328: D2A2001D 00024320
	v_cvt_pk_fp8_f32 v29, v34, v35 op_sel:[0,0,1]              // 00000000D330: D2A2401D 00024722
	v_cvt_pk_fp8_f32 v30, v36, v37                             // 00000000D338: D2A2001E 00024B24
	v_cvt_pk_fp8_f32 v30, v38, v39 op_sel:[0,0,1]              // 00000000D340: D2A2401E 00024F26
	v_cvt_pk_fp8_f32 v31, v40, v41                             // 00000000D348: D2A2001F 00025328
	v_cvt_pk_fp8_f32 v31, v42, v43 op_sel:[0,0,1]              // 00000000D350: D2A2401F 0002572A
	v_cvt_pk_fp8_f32 v32, v44, v45                             // 00000000D358: D2A20020 00025B2C
	v_cvt_pk_fp8_f32 v32, v46, v47 op_sel:[0,0,1]              // 00000000D360: D2A24020 00025F2E
	v_cvt_pk_fp8_f32 v33, v48, v49                             // 00000000D368: D2A20021 00026330
	v_cvt_pk_fp8_f32 v33, v50, v51 op_sel:[0,0,1]              // 00000000D370: D2A24021 00026732
	v_cvt_pk_fp8_f32 v34, v52, v53                             // 00000000D378: D2A20022 00026B34
	v_cvt_pk_fp8_f32 v34, v54, v55 op_sel:[0,0,1]              // 00000000D380: D2A24022 00026F36
	v_cvt_pk_fp8_f32 v35, v56, v57                             // 00000000D388: D2A20023 00027338
	v_cvt_pk_fp8_f32 v35, v58, v59 op_sel:[0,0,1]              // 00000000D390: D2A24023 0002773A
	ds_write_b32 v212, v28 offset:4608                         // 00000000D398: D81A1200 00001CD4
	ds_write_b32 v212, v29 offset:5632                         // 00000000D3A0: D81A1600 00001DD4
	ds_write_b32 v212, v30 offset:6656                         // 00000000D3A8: D81A1A00 00001ED4
	ds_write_b32 v212, v31 offset:7680                         // 00000000D3B0: D81A1E00 00001FD4
	ds_write_b32 v212, v32 offset:8704                         // 00000000D3B8: D81A2200 000020D4
	ds_write_b32 v212, v33 offset:9728                         // 00000000D3C0: D81A2600 000021D4
	ds_write_b32 v212, v34 offset:10752                        // 00000000D3C8: D81A2A00 000022D4
	ds_write_b32 v212, v35 offset:11776                        // 00000000D3D0: D81A2E00 000023D4
	v_rcp_f32_e32 v132, v146                                   // 00000000D3D8: 7F084592
	v_rcp_f32_e32 v134, v147                                   // 00000000D3DC: 7F0C4593
	v_mov_b32_e32 v133, v132                                   // 00000000D3E0: 7F0A0384
	v_mov_b32_e32 v135, v134                                   // 00000000D3E4: 7F0E0386
	v_pk_add_f32 v[108:109], v[108:109], v[92:93]              // 00000000D3E8: D3B2406C 1802B96C
	v_pk_add_f32 v[110:111], v[110:111], v[94:95]              // 00000000D3F0: D3B2406E 1802BD6E
	v_pk_add_f32 v[112:113], v[112:113], v[96:97]              // 00000000D3F8: D3B24070 1802C170
	v_pk_add_f32 v[114:115], v[114:115], v[98:99]              // 00000000D400: D3B24072 1802C572
	v_pk_add_f32 v[116:117], v[116:117], v[100:101]            // 00000000D408: D3B24074 1802C974
	v_pk_add_f32 v[118:119], v[118:119], v[102:103]            // 00000000D410: D3B24076 1802CD76
	v_pk_add_f32 v[120:121], v[120:121], v[104:105]            // 00000000D418: D3B24078 1802D178
	v_pk_add_f32 v[122:123], v[122:123], v[106:107]            // 00000000D420: D3B2407A 1802D57A
	s_waitcnt lgkmcnt(0)                                       // 00000000D428: BF8CC07F
	s_barrier                                                  // 00000000D42C: BF8A0000
	ds_read_b128 v[28:31], v213 offset:4608                    // 00000000D430: D9FE1200 1C0000D5
	ds_read_b128 v[32:35], v213 offset:5632                    // 00000000D438: D9FE1600 200000D5
	ds_read_b128 v[36:39], v213 offset:6656                    // 00000000D440: D9FE1A00 240000D5
	ds_read_b128 v[40:43], v213 offset:7680                    // 00000000D448: D9FE1E00 280000D5
	ds_read_b128 v[44:47], v213 offset:8704                    // 00000000D450: D9FE2200 2C0000D5
	ds_read_b128 v[48:51], v213 offset:9728                    // 00000000D458: D9FE2600 300000D5
	ds_read_b128 v[52:55], v213 offset:10752                   // 00000000D460: D9FE2A00 340000D5
	ds_read_b128 v[56:59], v213 offset:11776                   // 00000000D468: D9FE2E00 380000D5
	s_waitcnt vmcnt(10)                                        // 00000000D470: BF8C0F7A
	s_waitcnt lgkmcnt(7)                                       // 00000000D474: BF8CC77F
	v_mfma_f32_16x16x32_fp8_fp8 v[92:95], a[96:97], v[28:29], 0// 00000000D478: D3F3005C 0A023960
	v_mfma_f32_16x16x32_fp8_fp8 v[96:99], a[112:113], v[28:29], 0// 00000000D480: D3F30060 0A023970
	v_mfma_f32_16x16x32_fp8_fp8 v[92:95], a[98:99], v[30:31], v[92:95]// 00000000D488: D3F3005C 0D723D62
	buffer_load_dwordx4 a[64:67], v198, s[16:19], 0 offen      // 00000000D490: E05C1000 808440C6
	v_mfma_f32_16x16x32_fp8_fp8 v[96:99], a[114:115], v[30:31], v[96:99]// 00000000D498: D3F30060 0D823D72
	s_waitcnt lgkmcnt(6)                                       // 00000000D4A0: BF8CC67F
	v_mfma_f32_16x16x32_fp8_fp8 v[92:95], a[100:101], v[32:33], v[92:95]// 00000000D4A4: D3F3005C 0D724164
	v_mfma_f32_16x16x32_fp8_fp8 v[96:99], a[116:117], v[32:33], v[96:99]// 00000000D4AC: D3F30060 0D824174
	v_mfma_f32_16x16x32_fp8_fp8 v[92:95], a[102:103], v[34:35], v[92:95]// 00000000D4B4: D3F3005C 0D724566
	buffer_load_dwordx4 a[68:71], v199, s[16:19], 0 offen      // 00000000D4BC: E05C1000 808444C7
	v_mfma_f32_16x16x32_fp8_fp8 v[96:99], a[118:119], v[34:35], v[96:99]// 00000000D4C4: D3F30060 0D824576
	s_waitcnt lgkmcnt(5)                                       // 00000000D4CC: BF8CC57F
	v_mfma_f32_16x16x32_fp8_fp8 v[92:95], a[104:105], v[36:37], v[92:95]// 00000000D4D0: D3F3005C 0D724968
	v_mfma_f32_16x16x32_fp8_fp8 v[96:99], a[120:121], v[36:37], v[96:99]// 00000000D4D8: D3F30060 0D824978
	v_mfma_f32_16x16x32_fp8_fp8 v[92:95], a[106:107], v[38:39], v[92:95]// 00000000D4E0: D3F3005C 0D724D6A
	buffer_load_dwordx4 a[72:75], v200, s[16:19], 0 offen      // 00000000D4E8: E05C1000 808448C8
	v_mfma_f32_16x16x32_fp8_fp8 v[96:99], a[122:123], v[38:39], v[96:99]// 00000000D4F0: D3F30060 0D824D7A
	s_waitcnt lgkmcnt(4)                                       // 00000000D4F8: BF8CC47F
	v_mfma_f32_16x16x32_fp8_fp8 v[92:95], a[108:109], v[40:41], v[92:95]// 00000000D4FC: D3F3005C 0D72516C
	v_mfma_f32_16x16x32_fp8_fp8 v[96:99], a[124:125], v[40:41], v[96:99]// 00000000D504: D3F30060 0D82517C
	v_mfma_f32_16x16x32_fp8_fp8 v[92:95], a[110:111], v[42:43], v[92:95]// 00000000D50C: D3F3005C 0D72556E
	buffer_load_dwordx4 a[76:79], v201, s[16:19], 0 offen      // 00000000D514: E05C1000 80844CC9
	v_mfma_f32_16x16x32_fp8_fp8 v[96:99], a[126:127], v[42:43], v[96:99]// 00000000D51C: D3F30060 0D82557E
	s_waitcnt lgkmcnt(3)                                       // 00000000D524: BF8CC37F
	v_mfma_f32_16x16x32_fp8_fp8 v[100:103], a[96:97], v[44:45], 0// 00000000D528: D3F30064 0A025960
	v_mfma_f32_16x16x32_fp8_fp8 v[104:107], a[112:113], v[44:45], 0// 00000000D530: D3F30068 0A025970
	v_mfma_f32_16x16x32_fp8_fp8 v[100:103], a[98:99], v[46:47], v[100:103]// 00000000D538: D3F30064 0D925D62
	buffer_load_dwordx4 a[80:83], v198, s[16:19], 0 offen offset:1024// 00000000D540: E05C1400 808450C6
	v_mfma_f32_16x16x32_fp8_fp8 v[104:107], a[114:115], v[46:47], v[104:107]// 00000000D548: D3F30068 0DA25D72
	s_waitcnt lgkmcnt(2)                                       // 00000000D550: BF8CC27F
	v_mfma_f32_16x16x32_fp8_fp8 v[100:103], a[100:101], v[48:49], v[100:103]// 00000000D554: D3F30064 0D926164
	v_mfma_f32_16x16x32_fp8_fp8 v[104:107], a[116:117], v[48:49], v[104:107]// 00000000D55C: D3F30068 0DA26174
	v_mfma_f32_16x16x32_fp8_fp8 v[100:103], a[102:103], v[50:51], v[100:103]// 00000000D564: D3F30064 0D926566
	buffer_load_dwordx4 a[84:87], v199, s[16:19], 0 offen offset:1024// 00000000D56C: E05C1400 808454C7
	v_mfma_f32_16x16x32_fp8_fp8 v[104:107], a[118:119], v[50:51], v[104:107]// 00000000D574: D3F30068 0DA26576
	s_waitcnt lgkmcnt(1)                                       // 00000000D57C: BF8CC17F
	v_mfma_f32_16x16x32_fp8_fp8 v[100:103], a[104:105], v[52:53], v[100:103]// 00000000D580: D3F30064 0D926968
	v_mfma_f32_16x16x32_fp8_fp8 v[104:107], a[120:121], v[52:53], v[104:107]// 00000000D588: D3F30068 0DA26978
	v_mfma_f32_16x16x32_fp8_fp8 v[100:103], a[106:107], v[54:55], v[100:103]// 00000000D590: D3F30064 0D926D6A
	buffer_load_dwordx4 a[88:91], v200, s[16:19], 0 offen offset:1024// 00000000D598: E05C1400 808458C8
	v_mfma_f32_16x16x32_fp8_fp8 v[104:107], a[122:123], v[54:55], v[104:107]// 00000000D5A0: D3F30068 0DA26D7A
	s_waitcnt lgkmcnt(0)                                       // 00000000D5A8: BF8CC07F
	v_mfma_f32_16x16x32_fp8_fp8 v[100:103], a[108:109], v[56:57], v[100:103]// 00000000D5AC: D3F30064 0D92716C
	v_mfma_f32_16x16x32_fp8_fp8 v[104:107], a[124:125], v[56:57], v[104:107]// 00000000D5B4: D3F30068 0DA2717C
	v_mfma_f32_16x16x32_fp8_fp8 v[100:103], a[110:111], v[58:59], v[100:103]// 00000000D5BC: D3F30064 0D92756E
	buffer_load_dwordx4 a[92:95], v201, s[16:19], 0 offen offset:1024// 00000000D5C4: E05C1400 80845CC9
	v_mfma_f32_16x16x32_fp8_fp8 v[104:107], a[126:127], v[58:59], v[104:107]// 00000000D5CC: D3F30068 0DA2757E
	s_addk_i32 s49, 0x100                                      // 00000000D5D4: B7310100
	s_branch label_2D37                                        // 00000000D5D8: BF820000

000000000000d5dc <label_2D37>:
	s_waitcnt vmcnt(10)                                        // 00000000D5DC: BF8C0F7A
	v_mfma_f32_16x16x32_fp8_fp8 v[28:31], a[0:1], v[12:13], 0  // 00000000D5E0: D3F3001C 0A021900
	v_mfma_f32_16x16x32_fp8_fp8 v[28:31], a[2:3], v[14:15], v[28:31]// 00000000D5E8: D3F3001C 0C721D02
	v_mfma_f32_16x16x32_fp8_fp8 v[28:31], a[4:5], v[16:17], v[28:31]// 00000000D5F0: D3F3001C 0C722104
	v_mfma_f32_16x16x32_fp8_fp8 v[28:31], a[6:7], v[18:19], v[28:31]// 00000000D5F8: D3F3001C 0C722506
	v_mfma_f32_16x16x32_fp8_fp8 v[32:35], a[8:9], v[12:13], 0  // 00000000D600: D3F30020 0A021908
	v_mfma_f32_16x16x32_fp8_fp8 v[32:35], a[10:11], v[14:15], v[32:35]// 00000000D608: D3F30020 0C821D0A
	v_mfma_f32_16x16x32_fp8_fp8 v[32:35], a[12:13], v[16:17], v[32:35]// 00000000D610: D3F30020 0C82210C
	v_mfma_f32_16x16x32_fp8_fp8 v[32:35], a[14:15], v[18:19], v[32:35]// 00000000D618: D3F30020 0C82250E
	v_mfma_f32_16x16x32_fp8_fp8 v[36:39], a[16:17], v[12:13], 0// 00000000D620: D3F30024 0A021910
	v_mfma_f32_16x16x32_fp8_fp8 v[36:39], a[18:19], v[14:15], v[36:39]// 00000000D628: D3F30024 0C921D12
	v_mfma_f32_16x16x32_fp8_fp8 v[36:39], a[20:21], v[16:17], v[36:39]// 00000000D630: D3F30024 0C922114
	v_mfma_f32_16x16x32_fp8_fp8 v[36:39], a[22:23], v[18:19], v[36:39]// 00000000D638: D3F30024 0C922516
	v_mfma_f32_16x16x32_fp8_fp8 v[40:43], a[24:25], v[12:13], 0// 00000000D640: D3F30028 0A021918
	v_mfma_f32_16x16x32_fp8_fp8 v[40:43], a[26:27], v[14:15], v[40:43]// 00000000D648: D3F30028 0CA21D1A
	v_mfma_f32_16x16x32_fp8_fp8 v[40:43], a[28:29], v[16:17], v[40:43]// 00000000D650: D3F30028 0CA2211C
	v_mfma_f32_16x16x32_fp8_fp8 v[40:43], a[30:31], v[18:19], v[40:43]// 00000000D658: D3F30028 0CA2251E
	v_mfma_f32_16x16x32_fp8_fp8 v[44:47], a[0:1], v[20:21], 0  // 00000000D660: D3F3002C 0A022900
	v_mfma_f32_16x16x32_fp8_fp8 v[44:47], a[2:3], v[22:23], v[44:47]// 00000000D668: D3F3002C 0CB22D02
	v_mfma_f32_16x16x32_fp8_fp8 v[44:47], a[4:5], v[24:25], v[44:47]// 00000000D670: D3F3002C 0CB23104
	v_mfma_f32_16x16x32_fp8_fp8 v[44:47], a[6:7], v[26:27], v[44:47]// 00000000D678: D3F3002C 0CB23506
	v_mfma_f32_16x16x32_fp8_fp8 v[48:51], a[8:9], v[20:21], 0  // 00000000D680: D3F30030 0A022908
	v_mfma_f32_16x16x32_fp8_fp8 v[48:51], a[10:11], v[22:23], v[48:51]// 00000000D688: D3F30030 0CC22D0A
	v_mfma_f32_16x16x32_fp8_fp8 v[48:51], a[12:13], v[24:25], v[48:51]// 00000000D690: D3F30030 0CC2310C
	v_mfma_f32_16x16x32_fp8_fp8 v[48:51], a[14:15], v[26:27], v[48:51]// 00000000D698: D3F30030 0CC2350E
	v_mfma_f32_16x16x32_fp8_fp8 v[52:55], a[16:17], v[20:21], 0// 00000000D6A0: D3F30034 0A022910
	v_mfma_f32_16x16x32_fp8_fp8 v[52:55], a[18:19], v[22:23], v[52:55]// 00000000D6A8: D3F30034 0CD22D12
	v_mfma_f32_16x16x32_fp8_fp8 v[52:55], a[20:21], v[24:25], v[52:55]// 00000000D6B0: D3F30034 0CD23114
	v_mfma_f32_16x16x32_fp8_fp8 v[52:55], a[22:23], v[26:27], v[52:55]// 00000000D6B8: D3F30034 0CD23516
	v_mfma_f32_16x16x32_fp8_fp8 v[56:59], a[24:25], v[20:21], 0// 00000000D6C0: D3F30038 0A022918
	v_mfma_f32_16x16x32_fp8_fp8 v[56:59], a[26:27], v[22:23], v[56:59]// 00000000D6C8: D3F30038 0CE22D1A
	v_mfma_f32_16x16x32_fp8_fp8 v[56:59], a[28:29], v[24:25], v[56:59]// 00000000D6D0: D3F30038 0CE2311C
	v_mfma_f32_16x16x32_fp8_fp8 v[56:59], a[30:31], v[26:27], v[56:59]// 00000000D6D8: D3F30038 0CE2351E
	s_waitcnt vmcnt(8)                                         // 00000000D6E0: BF8C0F78
	v_pk_mul_f32 v[28:29], v[124:125], v[28:29]                // 00000000D6E4: D3B1401C 1802397C
	v_pk_mul_f32 v[30:31], v[124:125], v[30:31]                // 00000000D6EC: D3B1401E 18023D7C
	v_mul_f32_dpp v28, v128, v28 row_newbcast:0 row_mask:0xf bank_mask:0xf// 00000000D6F4: 0A3838FA FF015080
	v_mul_f32_dpp v29, v128, v29 row_newbcast:1 row_mask:0xf bank_mask:0xf// 00000000D6FC: 0A3A3AFA FF015180
	v_mul_f32_dpp v30, v128, v30 row_newbcast:2 row_mask:0xf bank_mask:0xf// 00000000D704: 0A3C3CFA FF015280
	v_mul_f32_dpp v31, v128, v31 row_newbcast:3 row_mask:0xf bank_mask:0xf// 00000000D70C: 0A3E3EFA FF015380
	v_pk_mul_f32 v[32:33], v[124:125], v[32:33]                // 00000000D714: D3B14020 1802417C
	v_pk_mul_f32 v[34:35], v[124:125], v[34:35]                // 00000000D71C: D3B14022 1802457C
	v_mul_f32_dpp v32, v128, v32 row_newbcast:4 row_mask:0xf bank_mask:0xf// 00000000D724: 0A4040FA FF015480
	v_mul_f32_dpp v33, v128, v33 row_newbcast:5 row_mask:0xf bank_mask:0xf// 00000000D72C: 0A4242FA FF015580
	v_mul_f32_dpp v34, v128, v34 row_newbcast:6 row_mask:0xf bank_mask:0xf// 00000000D734: 0A4444FA FF015680
	v_mul_f32_dpp v35, v128, v35 row_newbcast:7 row_mask:0xf bank_mask:0xf// 00000000D73C: 0A4646FA FF015780
	v_pk_mul_f32 v[36:37], v[124:125], v[36:37]                // 00000000D744: D3B14024 1802497C
	v_pk_mul_f32 v[38:39], v[124:125], v[38:39]                // 00000000D74C: D3B14026 18024D7C
	v_mul_f32_dpp v36, v128, v36 row_newbcast:8 row_mask:0xf bank_mask:0xf// 00000000D754: 0A4848FA FF015880
	v_mul_f32_dpp v37, v128, v37 row_newbcast:9 row_mask:0xf bank_mask:0xf// 00000000D75C: 0A4A4AFA FF015980
	v_mul_f32_dpp v38, v128, v38 row_newbcast:10 row_mask:0xf bank_mask:0xf// 00000000D764: 0A4C4CFA FF015A80
	v_mul_f32_dpp v39, v128, v39 row_newbcast:11 row_mask:0xf bank_mask:0xf// 00000000D76C: 0A4E4EFA FF015B80
	v_pk_mul_f32 v[40:41], v[124:125], v[40:41]                // 00000000D774: D3B14028 1802517C
	v_pk_mul_f32 v[42:43], v[124:125], v[42:43]                // 00000000D77C: D3B1402A 1802557C
	v_mul_f32_dpp v40, v128, v40 row_newbcast:12 row_mask:0xf bank_mask:0xf// 00000000D784: 0A5050FA FF015C80
	v_mul_f32_dpp v41, v128, v41 row_newbcast:13 row_mask:0xf bank_mask:0xf// 00000000D78C: 0A5252FA FF015D80
	v_mul_f32_dpp v42, v128, v42 row_newbcast:14 row_mask:0xf bank_mask:0xf// 00000000D794: 0A5454FA FF015E80
	v_mul_f32_dpp v43, v128, v43 row_newbcast:15 row_mask:0xf bank_mask:0xf// 00000000D79C: 0A5656FA FF015F80
	v_pk_mul_f32 v[44:45], v[126:127], v[44:45]                // 00000000D7A4: D3B1402C 1802597E
	v_pk_mul_f32 v[46:47], v[126:127], v[46:47]                // 00000000D7AC: D3B1402E 18025D7E
	v_mul_f32_dpp v44, v128, v44 row_newbcast:0 row_mask:0xf bank_mask:0xf// 00000000D7B4: 0A5858FA FF015080
	v_mul_f32_dpp v45, v128, v45 row_newbcast:1 row_mask:0xf bank_mask:0xf// 00000000D7BC: 0A5A5AFA FF015180
	v_mul_f32_dpp v46, v128, v46 row_newbcast:2 row_mask:0xf bank_mask:0xf// 00000000D7C4: 0A5C5CFA FF015280
	v_mul_f32_dpp v47, v128, v47 row_newbcast:3 row_mask:0xf bank_mask:0xf// 00000000D7CC: 0A5E5EFA FF015380
	v_pk_mul_f32 v[48:49], v[126:127], v[48:49]                // 00000000D7D4: D3B14030 1802617E
	v_pk_mul_f32 v[50:51], v[126:127], v[50:51]                // 00000000D7DC: D3B14032 1802657E
	v_mul_f32_dpp v48, v128, v48 row_newbcast:4 row_mask:0xf bank_mask:0xf// 00000000D7E4: 0A6060FA FF015480
	v_mul_f32_dpp v49, v128, v49 row_newbcast:5 row_mask:0xf bank_mask:0xf// 00000000D7EC: 0A6262FA FF015580
	v_mul_f32_dpp v50, v128, v50 row_newbcast:6 row_mask:0xf bank_mask:0xf// 00000000D7F4: 0A6464FA FF015680
	v_mul_f32_dpp v51, v128, v51 row_newbcast:7 row_mask:0xf bank_mask:0xf// 00000000D7FC: 0A6666FA FF015780
	v_pk_mul_f32 v[52:53], v[126:127], v[52:53]                // 00000000D804: D3B14034 1802697E
	v_pk_mul_f32 v[54:55], v[126:127], v[54:55]                // 00000000D80C: D3B14036 18026D7E
	v_mul_f32_dpp v52, v128, v52 row_newbcast:8 row_mask:0xf bank_mask:0xf// 00000000D814: 0A6868FA FF015880
	v_mul_f32_dpp v53, v128, v53 row_newbcast:9 row_mask:0xf bank_mask:0xf// 00000000D81C: 0A6A6AFA FF015980
	v_mul_f32_dpp v54, v128, v54 row_newbcast:10 row_mask:0xf bank_mask:0xf// 00000000D824: 0A6C6CFA FF015A80
	v_mul_f32_dpp v55, v128, v55 row_newbcast:11 row_mask:0xf bank_mask:0xf// 00000000D82C: 0A6E6EFA FF015B80
	v_pk_mul_f32 v[56:57], v[126:127], v[56:57]                // 00000000D834: D3B14038 1802717E
	v_pk_mul_f32 v[58:59], v[126:127], v[58:59]                // 00000000D83C: D3B1403A 1802757E
	v_mul_f32_dpp v56, v128, v56 row_newbcast:12 row_mask:0xf bank_mask:0xf// 00000000D844: 0A7070FA FF015C80
	v_mul_f32_dpp v57, v128, v57 row_newbcast:13 row_mask:0xf bank_mask:0xf// 00000000D84C: 0A7272FA FF015D80
	v_mul_f32_dpp v58, v128, v58 row_newbcast:14 row_mask:0xf bank_mask:0xf// 00000000D854: 0A7474FA FF015E80
	v_mul_f32_dpp v59, v128, v59 row_newbcast:15 row_mask:0xf bank_mask:0xf// 00000000D85C: 0A7676FA FF015F80
	v_add_u32_e32 v180, s49, v190                              // 00000000D864: 69697C31
	v_add_u32_e32 v181, 0, v180                                // 00000000D868: 696B6880
	v_cmp_lt_u32_e64 s[92:93], v181, v188                      // 00000000D86C: D0C9005C 000379B5
	s_nop 0                                                    // 00000000D874: BF800000
	v_cndmask_b32_e64 v28, v191, v28, s[92:93]                 // 00000000D878: D100001C 017239BF
	v_add_u32_e32 v181, 1, v180                                // 00000000D880: 696B6881
	v_cmp_lt_u32_e64 s[92:93], v181, v188                      // 00000000D884: D0C9005C 000379B5
	s_nop 0                                                    // 00000000D88C: BF800000
	v_cndmask_b32_e64 v29, v191, v29, s[92:93]                 // 00000000D890: D100001D 01723BBF
	v_add_u32_e32 v181, 2, v180                                // 00000000D898: 696B6882
	v_cmp_lt_u32_e64 s[92:93], v181, v188                      // 00000000D89C: D0C9005C 000379B5
	s_nop 0                                                    // 00000000D8A4: BF800000
	v_cndmask_b32_e64 v30, v191, v30, s[92:93]                 // 00000000D8A8: D100001E 01723DBF
	v_add_u32_e32 v181, 3, v180                                // 00000000D8B0: 696B6883
	v_cmp_lt_u32_e64 s[92:93], v181, v188                      // 00000000D8B4: D0C9005C 000379B5
	s_nop 0                                                    // 00000000D8BC: BF800000
	v_cndmask_b32_e64 v31, v191, v31, s[92:93]                 // 00000000D8C0: D100001F 01723FBF
	v_add_u32_e32 v181, 64, v180                               // 00000000D8C8: 696B68C0
	v_cmp_lt_u32_e64 s[92:93], v181, v188                      // 00000000D8CC: D0C9005C 000379B5
	s_nop 0                                                    // 00000000D8D4: BF800000
	v_cndmask_b32_e64 v32, v191, v32, s[92:93]                 // 00000000D8D8: D1000020 017241BF
	v_add_u32_e32 v181, 0x41, v180                             // 00000000D8E0: 696B68FF 00000041
	v_cmp_lt_u32_e64 s[92:93], v181, v188                      // 00000000D8E8: D0C9005C 000379B5
	s_nop 0                                                    // 00000000D8F0: BF800000
	v_cndmask_b32_e64 v33, v191, v33, s[92:93]                 // 00000000D8F4: D1000021 017243BF
	v_add_u32_e32 v181, 0x42, v180                             // 00000000D8FC: 696B68FF 00000042
	v_cmp_lt_u32_e64 s[92:93], v181, v188                      // 00000000D904: D0C9005C 000379B5
	s_nop 0                                                    // 00000000D90C: BF800000
	v_cndmask_b32_e64 v34, v191, v34, s[92:93]                 // 00000000D910: D1000022 017245BF
	v_add_u32_e32 v181, 0x43, v180                             // 00000000D918: 696B68FF 00000043
	v_cmp_lt_u32_e64 s[92:93], v181, v188                      // 00000000D920: D0C9005C 000379B5
	s_nop 0                                                    // 00000000D928: BF800000
	v_cndmask_b32_e64 v35, v191, v35, s[92:93]                 // 00000000D92C: D1000023 017247BF
	v_add_u32_e32 v181, 0x80, v180                             // 00000000D934: 696B68FF 00000080
	v_cmp_lt_u32_e64 s[92:93], v181, v188                      // 00000000D93C: D0C9005C 000379B5
	s_nop 0                                                    // 00000000D944: BF800000
	v_cndmask_b32_e64 v36, v191, v36, s[92:93]                 // 00000000D948: D1000024 017249BF
	v_add_u32_e32 v181, 0x81, v180                             // 00000000D950: 696B68FF 00000081
	v_cmp_lt_u32_e64 s[92:93], v181, v188                      // 00000000D958: D0C9005C 000379B5
	s_nop 0                                                    // 00000000D960: BF800000
	v_cndmask_b32_e64 v37, v191, v37, s[92:93]                 // 00000000D964: D1000025 01724BBF
	v_add_u32_e32 v181, 0x82, v180                             // 00000000D96C: 696B68FF 00000082
	v_cmp_lt_u32_e64 s[92:93], v181, v188                      // 00000000D974: D0C9005C 000379B5
	s_nop 0                                                    // 00000000D97C: BF800000
	v_cndmask_b32_e64 v38, v191, v38, s[92:93]                 // 00000000D980: D1000026 01724DBF
	v_add_u32_e32 v181, 0x83, v180                             // 00000000D988: 696B68FF 00000083
	v_cmp_lt_u32_e64 s[92:93], v181, v188                      // 00000000D990: D0C9005C 000379B5
	s_nop 0                                                    // 00000000D998: BF800000
	v_cndmask_b32_e64 v39, v191, v39, s[92:93]                 // 00000000D99C: D1000027 01724FBF
	v_add_u32_e32 v181, 0xc0, v180                             // 00000000D9A4: 696B68FF 000000C0
	v_cmp_lt_u32_e64 s[92:93], v181, v188                      // 00000000D9AC: D0C9005C 000379B5
	s_nop 0                                                    // 00000000D9B4: BF800000
	v_cndmask_b32_e64 v40, v191, v40, s[92:93]                 // 00000000D9B8: D1000028 017251BF
	v_add_u32_e32 v181, 0xc1, v180                             // 00000000D9C0: 696B68FF 000000C1
	v_cmp_lt_u32_e64 s[92:93], v181, v188                      // 00000000D9C8: D0C9005C 000379B5
	s_nop 0                                                    // 00000000D9D0: BF800000
	v_cndmask_b32_e64 v41, v191, v41, s[92:93]                 // 00000000D9D4: D1000029 017253BF
	v_add_u32_e32 v181, 0xc2, v180                             // 00000000D9DC: 696B68FF 000000C2
	v_cmp_lt_u32_e64 s[92:93], v181, v188                      // 00000000D9E4: D0C9005C 000379B5
	s_nop 0                                                    // 00000000D9EC: BF800000
	v_cndmask_b32_e64 v42, v191, v42, s[92:93]                 // 00000000D9F0: D100002A 017255BF
	v_add_u32_e32 v181, 0xc3, v180                             // 00000000D9F8: 696B68FF 000000C3
	v_cmp_lt_u32_e64 s[92:93], v181, v188                      // 00000000DA00: D0C9005C 000379B5
	s_nop 0                                                    // 00000000DA08: BF800000
	v_cndmask_b32_e64 v43, v191, v43, s[92:93]                 // 00000000DA0C: D100002B 017257BF
	v_add_u32_e32 v181, 0, v180                                // 00000000DA14: 696B6880
	v_cmp_lt_u32_e64 s[92:93], v181, v189                      // 00000000DA18: D0C9005C 00037BB5
	s_nop 0                                                    // 00000000DA20: BF800000
	v_cndmask_b32_e64 v44, v191, v44, s[92:93]                 // 00000000DA24: D100002C 017259BF
	v_add_u32_e32 v181, 1, v180                                // 00000000DA2C: 696B6881
	v_cmp_lt_u32_e64 s[92:93], v181, v189                      // 00000000DA30: D0C9005C 00037BB5
	s_nop 0                                                    // 00000000DA38: BF800000
	v_cndmask_b32_e64 v45, v191, v45, s[92:93]                 // 00000000DA3C: D100002D 01725BBF
	v_add_u32_e32 v181, 2, v180                                // 00000000DA44: 696B6882
	v_cmp_lt_u32_e64 s[92:93], v181, v189                      // 00000000DA48: D0C9005C 00037BB5
	s_nop 0                                                    // 00000000DA50: BF800000
	v_cndmask_b32_e64 v46, v191, v46, s[92:93]                 // 00000000DA54: D100002E 01725DBF
	v_add_u32_e32 v181, 3, v180                                // 00000000DA5C: 696B6883
	v_cmp_lt_u32_e64 s[92:93], v181, v189                      // 00000000DA60: D0C9005C 00037BB5
	s_nop 0                                                    // 00000000DA68: BF800000
	v_cndmask_b32_e64 v47, v191, v47, s[92:93]                 // 00000000DA6C: D100002F 01725FBF
	v_add_u32_e32 v181, 64, v180                               // 00000000DA74: 696B68C0
	v_cmp_lt_u32_e64 s[92:93], v181, v189                      // 00000000DA78: D0C9005C 00037BB5
	s_nop 0                                                    // 00000000DA80: BF800000
	v_cndmask_b32_e64 v48, v191, v48, s[92:93]                 // 00000000DA84: D1000030 017261BF
	v_add_u32_e32 v181, 0x41, v180                             // 00000000DA8C: 696B68FF 00000041
	v_cmp_lt_u32_e64 s[92:93], v181, v189                      // 00000000DA94: D0C9005C 00037BB5
	s_nop 0                                                    // 00000000DA9C: BF800000
	v_cndmask_b32_e64 v49, v191, v49, s[92:93]                 // 00000000DAA0: D1000031 017263BF
	v_add_u32_e32 v181, 0x42, v180                             // 00000000DAA8: 696B68FF 00000042
	v_cmp_lt_u32_e64 s[92:93], v181, v189                      // 00000000DAB0: D0C9005C 00037BB5
	s_nop 0                                                    // 00000000DAB8: BF800000
	v_cndmask_b32_e64 v50, v191, v50, s[92:93]                 // 00000000DABC: D1000032 017265BF
	v_add_u32_e32 v181, 0x43, v180                             // 00000000DAC4: 696B68FF 00000043
	v_cmp_lt_u32_e64 s[92:93], v181, v189                      // 00000000DACC: D0C9005C 00037BB5
	s_nop 0                                                    // 00000000DAD4: BF800000
	v_cndmask_b32_e64 v51, v191, v51, s[92:93]                 // 00000000DAD8: D1000033 017267BF
	v_add_u32_e32 v181, 0x80, v180                             // 00000000DAE0: 696B68FF 00000080
	v_cmp_lt_u32_e64 s[92:93], v181, v189                      // 00000000DAE8: D0C9005C 00037BB5
	s_nop 0                                                    // 00000000DAF0: BF800000
	v_cndmask_b32_e64 v52, v191, v52, s[92:93]                 // 00000000DAF4: D1000034 017269BF
	v_add_u32_e32 v181, 0x81, v180                             // 00000000DAFC: 696B68FF 00000081
	v_cmp_lt_u32_e64 s[92:93], v181, v189                      // 00000000DB04: D0C9005C 00037BB5
	s_nop 0                                                    // 00000000DB0C: BF800000
	v_cndmask_b32_e64 v53, v191, v53, s[92:93]                 // 00000000DB10: D1000035 01726BBF
	v_add_u32_e32 v181, 0x82, v180                             // 00000000DB18: 696B68FF 00000082
	v_cmp_lt_u32_e64 s[92:93], v181, v189                      // 00000000DB20: D0C9005C 00037BB5
	s_nop 0                                                    // 00000000DB28: BF800000
	v_cndmask_b32_e64 v54, v191, v54, s[92:93]                 // 00000000DB2C: D1000036 01726DBF
	v_add_u32_e32 v181, 0x83, v180                             // 00000000DB34: 696B68FF 00000083
	v_cmp_lt_u32_e64 s[92:93], v181, v189                      // 00000000DB3C: D0C9005C 00037BB5
	s_nop 0                                                    // 00000000DB44: BF800000
	v_cndmask_b32_e64 v55, v191, v55, s[92:93]                 // 00000000DB48: D1000037 01726FBF
	v_add_u32_e32 v181, 0xc0, v180                             // 00000000DB50: 696B68FF 000000C0
	v_cmp_lt_u32_e64 s[92:93], v181, v189                      // 00000000DB58: D0C9005C 00037BB5
	s_nop 0                                                    // 00000000DB60: BF800000
	v_cndmask_b32_e64 v56, v191, v56, s[92:93]                 // 00000000DB64: D1000038 017271BF
	v_add_u32_e32 v181, 0xc1, v180                             // 00000000DB6C: 696B68FF 000000C1
	v_cmp_lt_u32_e64 s[92:93], v181, v189                      // 00000000DB74: D0C9005C 00037BB5
	s_nop 0                                                    // 00000000DB7C: BF800000
	v_cndmask_b32_e64 v57, v191, v57, s[92:93]                 // 00000000DB80: D1000039 017273BF
	v_add_u32_e32 v181, 0xc2, v180                             // 00000000DB88: 696B68FF 000000C2
	v_cmp_lt_u32_e64 s[92:93], v181, v189                      // 00000000DB90: D0C9005C 00037BB5
	s_nop 0                                                    // 00000000DB98: BF800000
	v_cndmask_b32_e64 v58, v191, v58, s[92:93]                 // 00000000DB9C: D100003A 017275BF
	v_add_u32_e32 v181, 0xc3, v180                             // 00000000DBA4: 696B68FF 000000C3
	v_cmp_lt_u32_e64 s[92:93], v181, v189                      // 00000000DBAC: D0C9005C 00037BB5
	s_nop 0                                                    // 00000000DBB4: BF800000
	v_cndmask_b32_e64 v59, v191, v59, s[92:93]                 // 00000000DBB8: D100003B 017277BF
	v_mov_b32_e32 v146, v28                                    // 00000000DBC0: 7F24031C
	v_max3_f32 v146, v28, v29, v146                            // 00000000DBC4: D1D30092 064A3B1C
	v_max3_f32 v146, v30, v31, v146                            // 00000000DBCC: D1D30092 064A3F1E
	v_max3_f32 v146, v32, v33, v146                            // 00000000DBD4: D1D30092 064A4320
	v_max3_f32 v146, v34, v35, v146                            // 00000000DBDC: D1D30092 064A4722
	v_max3_f32 v146, v36, v37, v146                            // 00000000DBE4: D1D30092 064A4B24
	v_max3_f32 v146, v38, v39, v146                            // 00000000DBEC: D1D30092 064A4F26
	v_max3_f32 v146, v40, v41, v146                            // 00000000DBF4: D1D30092 064A5328
	v_max3_f32 v146, v42, v43, v146                            // 00000000DBFC: D1D30092 064A572A
	v_mov_b32_e32 v147, v44                                    // 00000000DC04: 7F26032C
	v_max3_f32 v147, v44, v45, v147                            // 00000000DC08: D1D30093 064E5B2C
	v_max3_f32 v147, v46, v47, v147                            // 00000000DC10: D1D30093 064E5F2E
	v_max3_f32 v147, v48, v49, v147                            // 00000000DC18: D1D30093 064E6330
	v_max3_f32 v147, v50, v51, v147                            // 00000000DC20: D1D30093 064E6732
	v_max3_f32 v147, v52, v53, v147                            // 00000000DC28: D1D30093 064E6B34
	v_max3_f32 v147, v54, v55, v147                            // 00000000DC30: D1D30093 064E6F36
	v_max3_f32 v147, v56, v57, v147                            // 00000000DC38: D1D30093 064E7338
	v_max3_f32 v147, v58, v59, v147                            // 00000000DC40: D1D30093 064E773A
	ds_write_b64 v210, v[146:147]                              // 00000000DC48: D89A0000 000092D2
	v_pk_mul_f32 v[108:109], v[140:141], v[108:109]            // 00000000DC50: D3B1406C 1802D98C
	v_pk_mul_f32 v[110:111], v[140:141], v[110:111]            // 00000000DC58: D3B1406E 1802DD8C
	v_pk_mul_f32 v[112:113], v[140:141], v[112:113]            // 00000000DC60: D3B14070 1802E18C
	v_pk_mul_f32 v[114:115], v[140:141], v[114:115]            // 00000000DC68: D3B14072 1802E58C
	v_pk_mul_f32 v[116:117], v[142:143], v[116:117]            // 00000000DC70: D3B14074 1802E98E
	v_pk_mul_f32 v[118:119], v[142:143], v[118:119]            // 00000000DC78: D3B14076 1802ED8E
	v_pk_mul_f32 v[120:121], v[142:143], v[120:121]            // 00000000DC80: D3B14078 1802F18E
	v_pk_mul_f32 v[122:123], v[142:143], v[122:123]            // 00000000DC88: D3B1407A 1802F58E
	s_waitcnt lgkmcnt(0)                                       // 00000000DC90: BF8CC07F
	s_barrier                                                  // 00000000DC94: BF8A0000
	ds_read_b64 v[148:149], v211                               // 00000000DC98: D8EC0000 940000D3
	ds_read_b64 v[150:151], v211 offset:128                    // 00000000DCA0: D8EC0080 960000D3
	ds_read_b64 v[152:153], v211 offset:256                    // 00000000DCA8: D8EC0100 980000D3
	ds_read_b64 v[154:155], v211 offset:384                    // 00000000DCB0: D8EC0180 9A0000D3
	ds_read_b64 v[156:157], v211 offset:512                    // 00000000DCB8: D8EC0200 9C0000D3
	ds_read_b64 v[158:159], v211 offset:640                    // 00000000DCC0: D8EC0280 9E0000D3
	ds_read_b64 v[160:161], v211 offset:768                    // 00000000DCC8: D8EC0300 A00000D3
	ds_read_b64 v[162:163], v211 offset:896                    // 00000000DCD0: D8EC0380 A20000D3
	ds_read_b64 v[164:165], v211 offset:1024                   // 00000000DCD8: D8EC0400 A40000D3
	ds_read_b64 v[166:167], v211 offset:1152                   // 00000000DCE0: D8EC0480 A60000D3
	ds_read_b64 v[168:169], v211 offset:1280                   // 00000000DCE8: D8EC0500 A80000D3
	ds_read_b64 v[170:171], v211 offset:1408                   // 00000000DCF0: D8EC0580 AA0000D3
	ds_read_b64 v[172:173], v211 offset:1536                   // 00000000DCF8: D8EC0600 AC0000D3
	ds_read_b64 v[174:175], v211 offset:1664                   // 00000000DD00: D8EC0680 AE0000D3
	ds_read_b64 v[176:177], v211 offset:1792                   // 00000000DD08: D8EC0700 B00000D3
	ds_read_b64 v[178:179], v211 offset:1920                   // 00000000DD10: D8EC0780 B20000D3
	v_pk_mul_f32 v[92:93], v[132:133], v[92:93]                // 00000000DD18: D3B1405C 1802B984
	v_pk_mul_f32 v[94:95], v[132:133], v[94:95]                // 00000000DD20: D3B1405E 1802BD84
	v_pk_mul_f32 v[96:97], v[132:133], v[96:97]                // 00000000DD28: D3B14060 1802C184
	v_pk_mul_f32 v[98:99], v[132:133], v[98:99]                // 00000000DD30: D3B14062 1802C584
	v_pk_mul_f32 v[100:101], v[134:135], v[100:101]            // 00000000DD38: D3B14064 1802C986
	v_pk_mul_f32 v[102:103], v[134:135], v[102:103]            // 00000000DD40: D3B14066 1802CD86
	v_pk_mul_f32 v[104:105], v[134:135], v[104:105]            // 00000000DD48: D3B14068 1802D186
	v_pk_mul_f32 v[106:107], v[134:135], v[106:107]            // 00000000DD50: D3B1406A 1802D586
	s_waitcnt lgkmcnt(0)                                       // 00000000DD58: BF8CC07F
	v_max3_f32 v146, v148, v150, v146                          // 00000000DD5C: D1D30092 064B2D94
	v_max3_f32 v147, v149, v151, v147                          // 00000000DD64: D1D30093 064F2F95
	v_max3_f32 v146, v152, v154, v146                          // 00000000DD6C: D1D30092 064B3598
	v_max3_f32 v147, v153, v155, v147                          // 00000000DD74: D1D30093 064F3799
	v_max3_f32 v146, v156, v158, v146                          // 00000000DD7C: D1D30092 064B3D9C
	v_max3_f32 v147, v157, v159, v147                          // 00000000DD84: D1D30093 064F3F9D
	v_max3_f32 v146, v160, v162, v146                          // 00000000DD8C: D1D30092 064B45A0
	v_max3_f32 v147, v161, v163, v147                          // 00000000DD94: D1D30093 064F47A1
	v_max3_f32 v146, v164, v166, v146                          // 00000000DD9C: D1D30092 064B4DA4
	v_max3_f32 v147, v165, v167, v147                          // 00000000DDA4: D1D30093 064F4FA5
	v_max3_f32 v146, v168, v170, v146                          // 00000000DDAC: D1D30092 064B55A8
	v_max3_f32 v147, v169, v171, v147                          // 00000000DDB4: D1D30093 064F57A9
	v_max3_f32 v146, v172, v174, v146                          // 00000000DDBC: D1D30092 064B5DAC
	v_max3_f32 v147, v173, v175, v147                          // 00000000DDC4: D1D30093 064F5FAD
	v_max3_f32 v146, v176, v178, v146                          // 00000000DDCC: D1D30092 064B65B0
	v_max3_f32 v147, v177, v179, v147                          // 00000000DDD4: D1D30093 064F67B1
	v_max_f32_e32 v138, v146, v136                             // 00000000DDDC: 17151192
	v_mul_f32_e64 v180, -s51, v138                             // 00000000DDE0: D10500B4 20031433
	v_mov_b32_e32 v181, v180                                   // 00000000DDE8: 7F6A03B4
	v_pk_fma_f32 v[28:29], v[28:29], s[68:69], v[180:181]      // 00000000DDEC: D3B0401C 1ED0891C
	v_pk_fma_f32 v[30:31], v[30:31], s[68:69], v[180:181]      // 00000000DDF4: D3B0401E 1ED0891E
	v_exp_f32_e32 v28, v28                                     // 00000000DDFC: 7E38411C
	v_exp_f32_e32 v29, v29                                     // 00000000DE00: 7E3A411D
	v_exp_f32_e32 v30, v30                                     // 00000000DE04: 7E3C411E
	v_exp_f32_e32 v31, v31                                     // 00000000DE08: 7E3E411F
	v_pk_fma_f32 v[32:33], v[32:33], s[68:69], v[180:181]      // 00000000DE0C: D3B04020 1ED08920
	v_pk_fma_f32 v[34:35], v[34:35], s[68:69], v[180:181]      // 00000000DE14: D3B04022 1ED08922
	v_exp_f32_e32 v32, v32                                     // 00000000DE1C: 7E404120
	v_exp_f32_e32 v33, v33                                     // 00000000DE20: 7E424121
	v_exp_f32_e32 v34, v34                                     // 00000000DE24: 7E444122
	v_exp_f32_e32 v35, v35                                     // 00000000DE28: 7E464123
	v_pk_fma_f32 v[36:37], v[36:37], s[68:69], v[180:181]      // 00000000DE2C: D3B04024 1ED08924
	v_pk_fma_f32 v[38:39], v[38:39], s[68:69], v[180:181]      // 00000000DE34: D3B04026 1ED08926
	v_exp_f32_e32 v36, v36                                     // 00000000DE3C: 7E484124
	v_exp_f32_e32 v37, v37                                     // 00000000DE40: 7E4A4125
	v_exp_f32_e32 v38, v38                                     // 00000000DE44: 7E4C4126
	v_exp_f32_e32 v39, v39                                     // 00000000DE48: 7E4E4127
	v_pk_fma_f32 v[40:41], v[40:41], s[68:69], v[180:181]      // 00000000DE4C: D3B04028 1ED08928
	v_pk_fma_f32 v[42:43], v[42:43], s[68:69], v[180:181]      // 00000000DE54: D3B0402A 1ED0892A
	v_exp_f32_e32 v40, v40                                     // 00000000DE5C: 7E504128
	v_exp_f32_e32 v41, v41                                     // 00000000DE60: 7E524129
	v_exp_f32_e32 v42, v42                                     // 00000000DE64: 7E54412A
	v_exp_f32_e32 v43, v43                                     // 00000000DE68: 7E56412B
	v_max_f32_e32 v139, v147, v137                             // 00000000DE6C: 17171393
	v_mul_f32_e64 v180, -s51, v139                             // 00000000DE70: D10500B4 20031633
	v_mov_b32_e32 v181, v180                                   // 00000000DE78: 7F6A03B4
	v_pk_fma_f32 v[44:45], v[44:45], s[68:69], v[180:181]      // 00000000DE7C: D3B0402C 1ED0892C
	v_pk_fma_f32 v[46:47], v[46:47], s[68:69], v[180:181]      // 00000000DE84: D3B0402E 1ED0892E
	v_exp_f32_e32 v44, v44                                     // 00000000DE8C: 7E58412C
	v_exp_f32_e32 v45, v45                                     // 00000000DE90: 7E5A412D
	v_exp_f32_e32 v46, v46                                     // 00000000DE94: 7E5C412E
	v_exp_f32_e32 v47, v47                                     // 00000000DE98: 7E5E412F
	v_pk_fma_f32 v[48:49], v[48:49], s[68:69], v[180:181]      // 00000000DE9C: D3B04030 1ED08930
	v_pk_fma_f32 v[50:51], v[50:51], s[68:69], v[180:181]      // 00000000DEA4: D3B04032 1ED08932
	v_exp_f32_e32 v48, v48                                     // 00000000DEAC: 7E604130
	v_exp_f32_e32 v49, v49                                     // 00000000DEB0: 7E624131
	v_exp_f32_e32 v50, v50                                     // 00000000DEB4: 7E644132
	v_exp_f32_e32 v51, v51                                     // 00000000DEB8: 7E664133
	v_pk_fma_f32 v[52:53], v[52:53], s[68:69], v[180:181]      // 00000000DEBC: D3B04034 1ED08934
	v_pk_fma_f32 v[54:55], v[54:55], s[68:69], v[180:181]      // 00000000DEC4: D3B04036 1ED08936
	v_exp_f32_e32 v52, v52                                     // 00000000DECC: 7E684134
	v_exp_f32_e32 v53, v53                                     // 00000000DED0: 7E6A4135
	v_exp_f32_e32 v54, v54                                     // 00000000DED4: 7E6C4136
	v_exp_f32_e32 v55, v55                                     // 00000000DED8: 7E6E4137
	v_pk_fma_f32 v[56:57], v[56:57], s[68:69], v[180:181]      // 00000000DEDC: D3B04038 1ED08938
	v_pk_fma_f32 v[58:59], v[58:59], s[68:69], v[180:181]      // 00000000DEE4: D3B0403A 1ED0893A
	v_exp_f32_e32 v56, v56                                     // 00000000DEEC: 7E704138
	v_exp_f32_e32 v57, v57                                     // 00000000DEF0: 7E724139
	v_exp_f32_e32 v58, v58                                     // 00000000DEF4: 7E74413A
	v_exp_f32_e32 v59, v59                                     // 00000000DEF8: 7E76413B
	v_mul_f32_dpp v60, v130, v28 row_newbcast:0 row_mask:0xf bank_mask:0xf// 00000000DEFC: 0A7838FA FF015082
	v_mul_f32_dpp v61, v130, v29 row_newbcast:1 row_mask:0xf bank_mask:0xf// 00000000DF04: 0A7A3AFA FF015182
	v_mul_f32_dpp v62, v130, v30 row_newbcast:2 row_mask:0xf bank_mask:0xf// 00000000DF0C: 0A7C3CFA FF015282
	v_mul_f32_dpp v63, v130, v31 row_newbcast:3 row_mask:0xf bank_mask:0xf// 00000000DF14: 0A7E3EFA FF015382
	v_mul_f32_dpp v64, v130, v32 row_newbcast:4 row_mask:0xf bank_mask:0xf// 00000000DF1C: 0A8040FA FF015482
	v_mul_f32_dpp v65, v130, v33 row_newbcast:5 row_mask:0xf bank_mask:0xf// 00000000DF24: 0A8242FA FF015582
	v_mul_f32_dpp v66, v130, v34 row_newbcast:6 row_mask:0xf bank_mask:0xf// 00000000DF2C: 0A8444FA FF015682
	v_mul_f32_dpp v67, v130, v35 row_newbcast:7 row_mask:0xf bank_mask:0xf// 00000000DF34: 0A8646FA FF015782
	v_mul_f32_dpp v68, v130, v36 row_newbcast:8 row_mask:0xf bank_mask:0xf// 00000000DF3C: 0A8848FA FF015882
	v_mul_f32_dpp v69, v130, v37 row_newbcast:9 row_mask:0xf bank_mask:0xf// 00000000DF44: 0A8A4AFA FF015982
	v_mul_f32_dpp v70, v130, v38 row_newbcast:10 row_mask:0xf bank_mask:0xf// 00000000DF4C: 0A8C4CFA FF015A82
	v_mul_f32_dpp v71, v130, v39 row_newbcast:11 row_mask:0xf bank_mask:0xf// 00000000DF54: 0A8E4EFA FF015B82
	v_mul_f32_dpp v72, v130, v40 row_newbcast:12 row_mask:0xf bank_mask:0xf// 00000000DF5C: 0A9050FA FF015C82
	v_mul_f32_dpp v73, v130, v41 row_newbcast:13 row_mask:0xf bank_mask:0xf// 00000000DF64: 0A9252FA FF015D82
	v_mul_f32_dpp v74, v130, v42 row_newbcast:14 row_mask:0xf bank_mask:0xf// 00000000DF6C: 0A9454FA FF015E82
	v_mul_f32_dpp v75, v130, v43 row_newbcast:15 row_mask:0xf bank_mask:0xf// 00000000DF74: 0A9656FA FF015F82
	v_mul_f32_dpp v76, v130, v44 row_newbcast:0 row_mask:0xf bank_mask:0xf// 00000000DF7C: 0A9858FA FF015082
	v_mul_f32_dpp v77, v130, v45 row_newbcast:1 row_mask:0xf bank_mask:0xf// 00000000DF84: 0A9A5AFA FF015182
	v_mul_f32_dpp v78, v130, v46 row_newbcast:2 row_mask:0xf bank_mask:0xf// 00000000DF8C: 0A9C5CFA FF015282
	v_mul_f32_dpp v79, v130, v47 row_newbcast:3 row_mask:0xf bank_mask:0xf// 00000000DF94: 0A9E5EFA FF015382
	v_mul_f32_dpp v80, v130, v48 row_newbcast:4 row_mask:0xf bank_mask:0xf// 00000000DF9C: 0AA060FA FF015482
	v_mul_f32_dpp v81, v130, v49 row_newbcast:5 row_mask:0xf bank_mask:0xf// 00000000DFA4: 0AA262FA FF015582
	v_mul_f32_dpp v82, v130, v50 row_newbcast:6 row_mask:0xf bank_mask:0xf// 00000000DFAC: 0AA464FA FF015682
	v_mul_f32_dpp v83, v130, v51 row_newbcast:7 row_mask:0xf bank_mask:0xf// 00000000DFB4: 0AA666FA FF015782
	v_mul_f32_dpp v84, v130, v52 row_newbcast:8 row_mask:0xf bank_mask:0xf// 00000000DFBC: 0AA868FA FF015882
	v_mul_f32_dpp v85, v130, v53 row_newbcast:9 row_mask:0xf bank_mask:0xf// 00000000DFC4: 0AAA6AFA FF015982
	v_mul_f32_dpp v86, v130, v54 row_newbcast:10 row_mask:0xf bank_mask:0xf// 00000000DFCC: 0AAC6CFA FF015A82
	v_mul_f32_dpp v87, v130, v55 row_newbcast:11 row_mask:0xf bank_mask:0xf// 00000000DFD4: 0AAE6EFA FF015B82
	v_mul_f32_dpp v88, v130, v56 row_newbcast:12 row_mask:0xf bank_mask:0xf// 00000000DFDC: 0AB070FA FF015C82
	v_mul_f32_dpp v89, v130, v57 row_newbcast:13 row_mask:0xf bank_mask:0xf// 00000000DFE4: 0AB272FA FF015D82
	v_mul_f32_dpp v90, v130, v58 row_newbcast:14 row_mask:0xf bank_mask:0xf// 00000000DFEC: 0AB474FA FF015E82
	v_mul_f32_dpp v91, v130, v59 row_newbcast:15 row_mask:0xf bank_mask:0xf// 00000000DFF4: 0AB676FA FF015F82
	v_mov_b32_e32 v146, 0x358637bd                             // 00000000DFFC: 7F2402FF 358637BD
	v_max3_f32 v146, |v60|, |v61|, v146                        // 00000000E004: D1D30392 064A7B3C
	v_max3_f32 v146, |v62|, |v63|, v146                        // 00000000E00C: D1D30392 064A7F3E
	v_max3_f32 v146, |v64|, |v65|, v146                        // 00000000E014: D1D30392 064A8340
	v_max3_f32 v146, |v66|, |v67|, v146                        // 00000000E01C: D1D30392 064A8742
	v_max3_f32 v146, |v68|, |v69|, v146                        // 00000000E024: D1D30392 064A8B44
	v_max3_f32 v146, |v70|, |v71|, v146                        // 00000000E02C: D1D30392 064A8F46
	v_max3_f32 v146, |v72|, |v73|, v146                        // 00000000E034: D1D30392 064A9348
	v_max3_f32 v146, |v74|, |v75|, v146                        // 00000000E03C: D1D30392 064A974A
	v_mov_b32_e32 v147, 0x358637bd                             // 00000000E044: 7F2602FF 358637BD
	v_max3_f32 v147, |v76|, |v77|, v147                        // 00000000E04C: D1D30393 064E9B4C
	v_max3_f32 v147, |v78|, |v79|, v147                        // 00000000E054: D1D30393 064E9F4E
	v_max3_f32 v147, |v80|, |v81|, v147                        // 00000000E05C: D1D30393 064EA350
	v_max3_f32 v147, |v82|, |v83|, v147                        // 00000000E064: D1D30393 064EA752
	v_max3_f32 v147, |v84|, |v85|, v147                        // 00000000E06C: D1D30393 064EAB54
	v_max3_f32 v147, |v86|, |v87|, v147                        // 00000000E074: D1D30393 064EAF56
	v_max3_f32 v147, |v88|, |v89|, v147                        // 00000000E07C: D1D30393 064EB358
	v_max3_f32 v147, |v90|, |v91|, v147                        // 00000000E084: D1D30393 064EB75A
	ds_write_b64 v210, v[146:147] offset:2304                  // 00000000E08C: D89A0900 000092D2
	v_sub_f32_e32 v140, v136, v138                             // 00000000E094: 05191588
	v_cmp_eq_u32_e64 s[92:93], v191, v136                      // 00000000E098: D0CA005C 000311BF
	s_nop 0                                                    // 00000000E0A0: BF800000
	v_cndmask_b32_e64 v140, v140, 0, s[92:93]                  // 00000000E0A4: D100008C 0171018C
	v_mov_b32_e32 v136, v138                                   // 00000000E0AC: 7F10038A
	v_mul_f32_e32 v140, s51, v140                              // 00000000E0B0: 0B191833
	v_exp_f32_e32 v140, v140                                   // 00000000E0B4: 7F18418C
	v_sub_f32_e32 v142, v137, v139                             // 00000000E0B8: 051D1789
	v_cmp_eq_u32_e64 s[92:93], v191, v137                      // 00000000E0BC: D0CA005C 000313BF
	s_nop 0                                                    // 00000000E0C4: BF800000
	v_cndmask_b32_e64 v142, v142, 0, s[92:93]                  // 00000000E0C8: D100008E 0171018E
	v_mov_b32_e32 v137, v139                                   // 00000000E0D0: 7F12038B
	v_mul_f32_e32 v142, s51, v142                              // 00000000E0D4: 0B1D1C33
	v_exp_f32_e32 v142, v142                                   // 00000000E0D8: 7F1C418E
	v_mov_b32_e32 v141, v140                                   // 00000000E0DC: 7F1A038C
	v_mov_b32_e32 v143, v142                                   // 00000000E0E0: 7F1E038E
	s_waitcnt lgkmcnt(0)                                       // 00000000E0E4: BF8CC07F
	s_barrier                                                  // 00000000E0E8: BF8A0000
	ds_read_b64 v[148:149], v211 offset:2304                   // 00000000E0EC: D8EC0900 940000D3
	ds_read_b64 v[150:151], v211 offset:2432                   // 00000000E0F4: D8EC0980 960000D3
	ds_read_b64 v[152:153], v211 offset:2560                   // 00000000E0FC: D8EC0A00 980000D3
	ds_read_b64 v[154:155], v211 offset:2688                   // 00000000E104: D8EC0A80 9A0000D3
	ds_read_b64 v[156:157], v211 offset:2816                   // 00000000E10C: D8EC0B00 9C0000D3
	ds_read_b64 v[158:159], v211 offset:2944                   // 00000000E114: D8EC0B80 9E0000D3
	ds_read_b64 v[160:161], v211 offset:3072                   // 00000000E11C: D8EC0C00 A00000D3
	ds_read_b64 v[162:163], v211 offset:3200                   // 00000000E124: D8EC0C80 A20000D3
	ds_read_b64 v[164:165], v211 offset:3328                   // 00000000E12C: D8EC0D00 A40000D3
	ds_read_b64 v[166:167], v211 offset:3456                   // 00000000E134: D8EC0D80 A60000D3
	ds_read_b64 v[168:169], v211 offset:3584                   // 00000000E13C: D8EC0E00 A80000D3
	ds_read_b64 v[170:171], v211 offset:3712                   // 00000000E144: D8EC0E80 AA0000D3
	ds_read_b64 v[172:173], v211 offset:3840                   // 00000000E14C: D8EC0F00 AC0000D3
	ds_read_b64 v[174:175], v211 offset:3968                   // 00000000E154: D8EC0F80 AE0000D3
	ds_read_b64 v[176:177], v211 offset:4096                   // 00000000E15C: D8EC1000 B00000D3
	ds_read_b64 v[178:179], v211 offset:4224                   // 00000000E164: D8EC1080 B20000D3
	v_mul_f32_e32 v144, v140, v144                             // 00000000E16C: 0B21218C
	v_add_f32_e32 v144, v28, v144                              // 00000000E170: 0321211C
	v_add_f32_e32 v144, v29, v144                              // 00000000E174: 0321211D
	v_add_f32_e32 v144, v30, v144                              // 00000000E178: 0321211E
	v_add_f32_e32 v144, v31, v144                              // 00000000E17C: 0321211F
	v_add_f32_e32 v144, v32, v144                              // 00000000E180: 03212120
	v_add_f32_e32 v144, v33, v144                              // 00000000E184: 03212121
	v_add_f32_e32 v144, v34, v144                              // 00000000E188: 03212122
	v_add_f32_e32 v144, v35, v144                              // 00000000E18C: 03212123
	v_add_f32_e32 v144, v36, v144                              // 00000000E190: 03212124
	v_add_f32_e32 v144, v37, v144                              // 00000000E194: 03212125
	v_add_f32_e32 v144, v38, v144                              // 00000000E198: 03212126
	v_add_f32_e32 v144, v39, v144                              // 00000000E19C: 03212127
	v_add_f32_e32 v144, v40, v144                              // 00000000E1A0: 03212128
	v_add_f32_e32 v144, v41, v144                              // 00000000E1A4: 03212129
	v_add_f32_e32 v144, v42, v144                              // 00000000E1A8: 0321212A
	v_add_f32_e32 v144, v43, v144                              // 00000000E1AC: 0321212B
	v_mul_f32_e32 v145, v142, v145                             // 00000000E1B0: 0B23238E
	v_add_f32_e32 v145, v44, v145                              // 00000000E1B4: 0323232C
	v_add_f32_e32 v145, v45, v145                              // 00000000E1B8: 0323232D
	v_add_f32_e32 v145, v46, v145                              // 00000000E1BC: 0323232E
	v_add_f32_e32 v145, v47, v145                              // 00000000E1C0: 0323232F
	v_add_f32_e32 v145, v48, v145                              // 00000000E1C4: 03232330
	v_add_f32_e32 v145, v49, v145                              // 00000000E1C8: 03232331
	v_add_f32_e32 v145, v50, v145                              // 00000000E1CC: 03232332
	v_add_f32_e32 v145, v51, v145                              // 00000000E1D0: 03232333
	v_add_f32_e32 v145, v52, v145                              // 00000000E1D4: 03232334
	v_add_f32_e32 v145, v53, v145                              // 00000000E1D8: 03232335
	v_add_f32_e32 v145, v54, v145                              // 00000000E1DC: 03232336
	v_add_f32_e32 v145, v55, v145                              // 00000000E1E0: 03232337
	v_add_f32_e32 v145, v56, v145                              // 00000000E1E4: 03232338
	v_add_f32_e32 v145, v57, v145                              // 00000000E1E8: 03232339
	v_add_f32_e32 v145, v58, v145                              // 00000000E1EC: 0323233A
	v_add_f32_e32 v145, v59, v145                              // 00000000E1F0: 0323233B
	s_waitcnt lgkmcnt(0)                                       // 00000000E1F4: BF8CC07F
	v_max3_f32 v146, v148, v150, v146                          // 00000000E1F8: D1D30092 064B2D94
	v_max3_f32 v147, v149, v151, v147                          // 00000000E200: D1D30093 064F2F95
	v_max3_f32 v146, v152, v154, v146                          // 00000000E208: D1D30092 064B3598
	v_max3_f32 v147, v153, v155, v147                          // 00000000E210: D1D30093 064F3799
	v_max3_f32 v146, v156, v158, v146                          // 00000000E218: D1D30092 064B3D9C
	v_max3_f32 v147, v157, v159, v147                          // 00000000E220: D1D30093 064F3F9D
	v_max3_f32 v146, v160, v162, v146                          // 00000000E228: D1D30092 064B45A0
	v_max3_f32 v147, v161, v163, v147                          // 00000000E230: D1D30093 064F47A1
	v_max3_f32 v146, v164, v166, v146                          // 00000000E238: D1D30092 064B4DA4
	v_max3_f32 v147, v165, v167, v147                          // 00000000E240: D1D30093 064F4FA5
	v_max3_f32 v146, v168, v170, v146                          // 00000000E248: D1D30092 064B55A8
	v_max3_f32 v147, v169, v171, v147                          // 00000000E250: D1D30093 064F57A9
	v_max3_f32 v146, v172, v174, v146                          // 00000000E258: D1D30092 064B5DAC
	v_max3_f32 v147, v173, v175, v147                          // 00000000E260: D1D30093 064F5FAD
	v_max3_f32 v146, v176, v178, v146                          // 00000000E268: D1D30092 064B65B0
	v_max3_f32 v147, v177, v179, v147                          // 00000000E270: D1D30093 064F67B1
	v_rcp_f32_e32 v146, v146                                   // 00000000E278: 7F244592
	v_rcp_f32_e32 v147, v147                                   // 00000000E27C: 7F264593
	v_mul_f32_e32 v146, 0x43700000, v146                       // 00000000E280: 0B2524FF 43700000
	v_mul_f32_e32 v147, 0x43700000, v147                       // 00000000E288: 0B2726FF 43700000
	v_mul_f32_e32 v28, v146, v60                               // 00000000E290: 0A387992
	v_mul_f32_e32 v29, v146, v61                               // 00000000E294: 0A3A7B92
	v_mul_f32_e32 v30, v146, v62                               // 00000000E298: 0A3C7D92
	v_mul_f32_e32 v31, v146, v63                               // 00000000E29C: 0A3E7F92
	v_mul_f32_e32 v32, v146, v64                               // 00000000E2A0: 0A408192
	v_mul_f32_e32 v33, v146, v65                               // 00000000E2A4: 0A428392
	v_mul_f32_e32 v34, v146, v66                               // 00000000E2A8: 0A448592
	v_mul_f32_e32 v35, v146, v67                               // 00000000E2AC: 0A468792
	v_mul_f32_e32 v36, v146, v68                               // 00000000E2B0: 0A488992
	v_mul_f32_e32 v37, v146, v69                               // 00000000E2B4: 0A4A8B92
	v_mul_f32_e32 v38, v146, v70                               // 00000000E2B8: 0A4C8D92
	v_mul_f32_e32 v39, v146, v71                               // 00000000E2BC: 0A4E8F92
	v_mul_f32_e32 v40, v146, v72                               // 00000000E2C0: 0A509192
	v_mul_f32_e32 v41, v146, v73                               // 00000000E2C4: 0A529392
	v_mul_f32_e32 v42, v146, v74                               // 00000000E2C8: 0A549592
	v_mul_f32_e32 v43, v146, v75                               // 00000000E2CC: 0A569792
	v_mul_f32_e32 v44, v147, v76                               // 00000000E2D0: 0A589993
	v_mul_f32_e32 v45, v147, v77                               // 00000000E2D4: 0A5A9B93
	v_mul_f32_e32 v46, v147, v78                               // 00000000E2D8: 0A5C9D93
	v_mul_f32_e32 v47, v147, v79                               // 00000000E2DC: 0A5E9F93
	v_mul_f32_e32 v48, v147, v80                               // 00000000E2E0: 0A60A193
	v_mul_f32_e32 v49, v147, v81                               // 00000000E2E4: 0A62A393
	v_mul_f32_e32 v50, v147, v82                               // 00000000E2E8: 0A64A593
	v_mul_f32_e32 v51, v147, v83                               // 00000000E2EC: 0A66A793
	v_mul_f32_e32 v52, v147, v84                               // 00000000E2F0: 0A68A993
	v_mul_f32_e32 v53, v147, v85                               // 00000000E2F4: 0A6AAB93
	v_mul_f32_e32 v54, v147, v86                               // 00000000E2F8: 0A6CAD93
	v_mul_f32_e32 v55, v147, v87                               // 00000000E2FC: 0A6EAF93
	v_mul_f32_e32 v56, v147, v88                               // 00000000E300: 0A70B193
	v_mul_f32_e32 v57, v147, v89                               // 00000000E304: 0A72B393
	v_mul_f32_e32 v58, v147, v90                               // 00000000E308: 0A74B593
	v_mul_f32_e32 v59, v147, v91                               // 00000000E30C: 0A76B793
	v_cvt_pk_fp8_f32 v28, v28, v29                             // 00000000E310: D2A2001C 00023B1C
	v_cvt_pk_fp8_f32 v28, v30, v31 op_sel:[0,0,1]              // 00000000E318: D2A2401C 00023F1E
	v_cvt_pk_fp8_f32 v29, v32, v33                             // 00000000E320: D2A2001D 00024320
	v_cvt_pk_fp8_f32 v29, v34, v35 op_sel:[0,0,1]              // 00000000E328: D2A2401D 00024722
	v_cvt_pk_fp8_f32 v30, v36, v37                             // 00000000E330: D2A2001E 00024B24
	v_cvt_pk_fp8_f32 v30, v38, v39 op_sel:[0,0,1]              // 00000000E338: D2A2401E 00024F26
	v_cvt_pk_fp8_f32 v31, v40, v41                             // 00000000E340: D2A2001F 00025328
	v_cvt_pk_fp8_f32 v31, v42, v43 op_sel:[0,0,1]              // 00000000E348: D2A2401F 0002572A
	v_cvt_pk_fp8_f32 v32, v44, v45                             // 00000000E350: D2A20020 00025B2C
	v_cvt_pk_fp8_f32 v32, v46, v47 op_sel:[0,0,1]              // 00000000E358: D2A24020 00025F2E
	v_cvt_pk_fp8_f32 v33, v48, v49                             // 00000000E360: D2A20021 00026330
	v_cvt_pk_fp8_f32 v33, v50, v51 op_sel:[0,0,1]              // 00000000E368: D2A24021 00026732
	v_cvt_pk_fp8_f32 v34, v52, v53                             // 00000000E370: D2A20022 00026B34
	v_cvt_pk_fp8_f32 v34, v54, v55 op_sel:[0,0,1]              // 00000000E378: D2A24022 00026F36
	v_cvt_pk_fp8_f32 v35, v56, v57                             // 00000000E380: D2A20023 00027338
	v_cvt_pk_fp8_f32 v35, v58, v59 op_sel:[0,0,1]              // 00000000E388: D2A24023 0002773A
	ds_write_b32 v212, v28 offset:4608                         // 00000000E390: D81A1200 00001CD4
	ds_write_b32 v212, v29 offset:5632                         // 00000000E398: D81A1600 00001DD4
	ds_write_b32 v212, v30 offset:6656                         // 00000000E3A0: D81A1A00 00001ED4
	ds_write_b32 v212, v31 offset:7680                         // 00000000E3A8: D81A1E00 00001FD4
	ds_write_b32 v212, v32 offset:8704                         // 00000000E3B0: D81A2200 000020D4
	ds_write_b32 v212, v33 offset:9728                         // 00000000E3B8: D81A2600 000021D4
	ds_write_b32 v212, v34 offset:10752                        // 00000000E3C0: D81A2A00 000022D4
	ds_write_b32 v212, v35 offset:11776                        // 00000000E3C8: D81A2E00 000023D4
	v_rcp_f32_e32 v132, v146                                   // 00000000E3D0: 7F084592
	v_rcp_f32_e32 v134, v147                                   // 00000000E3D4: 7F0C4593
	v_mov_b32_e32 v133, v132                                   // 00000000E3D8: 7F0A0384
	v_mov_b32_e32 v135, v134                                   // 00000000E3DC: 7F0E0386
	v_pk_add_f32 v[108:109], v[108:109], v[92:93]              // 00000000E3E0: D3B2406C 1802B96C
	v_pk_add_f32 v[110:111], v[110:111], v[94:95]              // 00000000E3E8: D3B2406E 1802BD6E
	v_pk_add_f32 v[112:113], v[112:113], v[96:97]              // 00000000E3F0: D3B24070 1802C170
	v_pk_add_f32 v[114:115], v[114:115], v[98:99]              // 00000000E3F8: D3B24072 1802C572
	v_pk_add_f32 v[116:117], v[116:117], v[100:101]            // 00000000E400: D3B24074 1802C974
	v_pk_add_f32 v[118:119], v[118:119], v[102:103]            // 00000000E408: D3B24076 1802CD76
	v_pk_add_f32 v[120:121], v[120:121], v[104:105]            // 00000000E410: D3B24078 1802D178
	v_pk_add_f32 v[122:123], v[122:123], v[106:107]            // 00000000E418: D3B2407A 1802D57A
	s_waitcnt lgkmcnt(0)                                       // 00000000E420: BF8CC07F
	s_barrier                                                  // 00000000E424: BF8A0000
	ds_read_b128 v[28:31], v213 offset:4608                    // 00000000E428: D9FE1200 1C0000D5
	ds_read_b128 v[32:35], v213 offset:5632                    // 00000000E430: D9FE1600 200000D5
	ds_read_b128 v[36:39], v213 offset:6656                    // 00000000E438: D9FE1A00 240000D5
	ds_read_b128 v[40:43], v213 offset:7680                    // 00000000E440: D9FE1E00 280000D5
	ds_read_b128 v[44:47], v213 offset:8704                    // 00000000E448: D9FE2200 2C0000D5
	ds_read_b128 v[48:51], v213 offset:9728                    // 00000000E450: D9FE2600 300000D5
	ds_read_b128 v[52:55], v213 offset:10752                   // 00000000E458: D9FE2A00 340000D5
	ds_read_b128 v[56:59], v213 offset:11776                   // 00000000E460: D9FE2E00 380000D5
	s_waitcnt vmcnt(0)                                         // 00000000E468: BF8C0F70
	s_waitcnt lgkmcnt(7)                                       // 00000000E46C: BF8CC77F
	v_mfma_f32_16x16x32_fp8_fp8 v[92:95], a[64:65], v[28:29], 0// 00000000E470: D3F3005C 0A023940
	v_mfma_f32_16x16x32_fp8_fp8 v[96:99], a[80:81], v[28:29], 0// 00000000E478: D3F30060 0A023950
	v_mfma_f32_16x16x32_fp8_fp8 v[92:95], a[66:67], v[30:31], v[92:95]// 00000000E480: D3F3005C 0D723D42
	v_mfma_f32_16x16x32_fp8_fp8 v[96:99], a[82:83], v[30:31], v[96:99]// 00000000E488: D3F30060 0D823D52
	s_waitcnt lgkmcnt(6)                                       // 00000000E490: BF8CC67F
	v_mfma_f32_16x16x32_fp8_fp8 v[92:95], a[68:69], v[32:33], v[92:95]// 00000000E494: D3F3005C 0D724144
	v_mfma_f32_16x16x32_fp8_fp8 v[96:99], a[84:85], v[32:33], v[96:99]// 00000000E49C: D3F30060 0D824154
	v_mfma_f32_16x16x32_fp8_fp8 v[92:95], a[70:71], v[34:35], v[92:95]// 00000000E4A4: D3F3005C 0D724546
	v_mfma_f32_16x16x32_fp8_fp8 v[96:99], a[86:87], v[34:35], v[96:99]// 00000000E4AC: D3F30060 0D824556
	s_waitcnt lgkmcnt(5)                                       // 00000000E4B4: BF8CC57F
	v_mfma_f32_16x16x32_fp8_fp8 v[92:95], a[72:73], v[36:37], v[92:95]// 00000000E4B8: D3F3005C 0D724948
	v_mfma_f32_16x16x32_fp8_fp8 v[96:99], a[88:89], v[36:37], v[96:99]// 00000000E4C0: D3F30060 0D824958
	v_mfma_f32_16x16x32_fp8_fp8 v[92:95], a[74:75], v[38:39], v[92:95]// 00000000E4C8: D3F3005C 0D724D4A
	v_mfma_f32_16x16x32_fp8_fp8 v[96:99], a[90:91], v[38:39], v[96:99]// 00000000E4D0: D3F30060 0D824D5A
	s_waitcnt lgkmcnt(4)                                       // 00000000E4D8: BF8CC47F
	v_mfma_f32_16x16x32_fp8_fp8 v[92:95], a[76:77], v[40:41], v[92:95]// 00000000E4DC: D3F3005C 0D72514C
	v_mfma_f32_16x16x32_fp8_fp8 v[96:99], a[92:93], v[40:41], v[96:99]// 00000000E4E4: D3F30060 0D82515C
	v_mfma_f32_16x16x32_fp8_fp8 v[92:95], a[78:79], v[42:43], v[92:95]// 00000000E4EC: D3F3005C 0D72554E
	v_mfma_f32_16x16x32_fp8_fp8 v[96:99], a[94:95], v[42:43], v[96:99]// 00000000E4F4: D3F30060 0D82555E
	s_waitcnt lgkmcnt(3)                                       // 00000000E4FC: BF8CC37F
	v_mfma_f32_16x16x32_fp8_fp8 v[100:103], a[64:65], v[44:45], 0// 00000000E500: D3F30064 0A025940
	v_mfma_f32_16x16x32_fp8_fp8 v[104:107], a[80:81], v[44:45], 0// 00000000E508: D3F30068 0A025950
	v_mfma_f32_16x16x32_fp8_fp8 v[100:103], a[66:67], v[46:47], v[100:103]// 00000000E510: D3F30064 0D925D42
	v_mfma_f32_16x16x32_fp8_fp8 v[104:107], a[82:83], v[46:47], v[104:107]// 00000000E518: D3F30068 0DA25D52
	s_waitcnt lgkmcnt(2)                                       // 00000000E520: BF8CC27F
	v_mfma_f32_16x16x32_fp8_fp8 v[100:103], a[68:69], v[48:49], v[100:103]// 00000000E524: D3F30064 0D926144
	v_mfma_f32_16x16x32_fp8_fp8 v[104:107], a[84:85], v[48:49], v[104:107]// 00000000E52C: D3F30068 0DA26154
	v_mfma_f32_16x16x32_fp8_fp8 v[100:103], a[70:71], v[50:51], v[100:103]// 00000000E534: D3F30064 0D926546
	v_mfma_f32_16x16x32_fp8_fp8 v[104:107], a[86:87], v[50:51], v[104:107]// 00000000E53C: D3F30068 0DA26556
	s_waitcnt lgkmcnt(1)                                       // 00000000E544: BF8CC17F
	v_mfma_f32_16x16x32_fp8_fp8 v[100:103], a[72:73], v[52:53], v[100:103]// 00000000E548: D3F30064 0D926948
	v_mfma_f32_16x16x32_fp8_fp8 v[104:107], a[88:89], v[52:53], v[104:107]// 00000000E550: D3F30068 0DA26958
	v_mfma_f32_16x16x32_fp8_fp8 v[100:103], a[74:75], v[54:55], v[100:103]// 00000000E558: D3F30064 0D926D4A
	v_mfma_f32_16x16x32_fp8_fp8 v[104:107], a[90:91], v[54:55], v[104:107]// 00000000E560: D3F30068 0DA26D5A
	s_waitcnt lgkmcnt(0)                                       // 00000000E568: BF8CC07F
	v_mfma_f32_16x16x32_fp8_fp8 v[100:103], a[76:77], v[56:57], v[100:103]// 00000000E56C: D3F30064 0D92714C
	v_mfma_f32_16x16x32_fp8_fp8 v[104:107], a[92:93], v[56:57], v[104:107]// 00000000E574: D3F30068 0DA2715C
	v_mfma_f32_16x16x32_fp8_fp8 v[100:103], a[78:79], v[58:59], v[100:103]// 00000000E57C: D3F30064 0D92754E
	v_mfma_f32_16x16x32_fp8_fp8 v[104:107], a[94:95], v[58:59], v[104:107]// 00000000E584: D3F30068 0DA2755E
	s_branch label_3510                                        // 00000000E58C: BF8203EC

000000000000e590 <label_3124>:
	s_waitcnt vmcnt(10)                                        // 00000000E590: BF8C0F7A
	v_mfma_f32_16x16x32_fp8_fp8 v[28:31], a[32:33], v[12:13], 0// 00000000E594: D3F3001C 0A021920
	v_mfma_f32_16x16x32_fp8_fp8 v[28:31], a[34:35], v[14:15], v[28:31]// 00000000E59C: D3F3001C 0C721D22
	v_mfma_f32_16x16x32_fp8_fp8 v[28:31], a[36:37], v[16:17], v[28:31]// 00000000E5A4: D3F3001C 0C722124
	v_mfma_f32_16x16x32_fp8_fp8 v[28:31], a[38:39], v[18:19], v[28:31]// 00000000E5AC: D3F3001C 0C722526
	v_mfma_f32_16x16x32_fp8_fp8 v[32:35], a[40:41], v[12:13], 0// 00000000E5B4: D3F30020 0A021928
	v_mfma_f32_16x16x32_fp8_fp8 v[32:35], a[42:43], v[14:15], v[32:35]// 00000000E5BC: D3F30020 0C821D2A
	v_mfma_f32_16x16x32_fp8_fp8 v[32:35], a[44:45], v[16:17], v[32:35]// 00000000E5C4: D3F30020 0C82212C
	v_mfma_f32_16x16x32_fp8_fp8 v[32:35], a[46:47], v[18:19], v[32:35]// 00000000E5CC: D3F30020 0C82252E
	v_mfma_f32_16x16x32_fp8_fp8 v[36:39], a[48:49], v[12:13], 0// 00000000E5D4: D3F30024 0A021930
	v_mfma_f32_16x16x32_fp8_fp8 v[36:39], a[50:51], v[14:15], v[36:39]// 00000000E5DC: D3F30024 0C921D32
	v_mfma_f32_16x16x32_fp8_fp8 v[36:39], a[52:53], v[16:17], v[36:39]// 00000000E5E4: D3F30024 0C922134
	v_mfma_f32_16x16x32_fp8_fp8 v[36:39], a[54:55], v[18:19], v[36:39]// 00000000E5EC: D3F30024 0C922536
	v_mfma_f32_16x16x32_fp8_fp8 v[40:43], a[56:57], v[12:13], 0// 00000000E5F4: D3F30028 0A021938
	v_mfma_f32_16x16x32_fp8_fp8 v[40:43], a[58:59], v[14:15], v[40:43]// 00000000E5FC: D3F30028 0CA21D3A
	v_mfma_f32_16x16x32_fp8_fp8 v[40:43], a[60:61], v[16:17], v[40:43]// 00000000E604: D3F30028 0CA2213C
	v_mfma_f32_16x16x32_fp8_fp8 v[40:43], a[62:63], v[18:19], v[40:43]// 00000000E60C: D3F30028 0CA2253E
	v_mfma_f32_16x16x32_fp8_fp8 v[44:47], a[32:33], v[20:21], 0// 00000000E614: D3F3002C 0A022920
	v_mfma_f32_16x16x32_fp8_fp8 v[44:47], a[34:35], v[22:23], v[44:47]// 00000000E61C: D3F3002C 0CB22D22
	v_mfma_f32_16x16x32_fp8_fp8 v[44:47], a[36:37], v[24:25], v[44:47]// 00000000E624: D3F3002C 0CB23124
	v_mfma_f32_16x16x32_fp8_fp8 v[44:47], a[38:39], v[26:27], v[44:47]// 00000000E62C: D3F3002C 0CB23526
	v_mfma_f32_16x16x32_fp8_fp8 v[48:51], a[40:41], v[20:21], 0// 00000000E634: D3F30030 0A022928
	v_mfma_f32_16x16x32_fp8_fp8 v[48:51], a[42:43], v[22:23], v[48:51]// 00000000E63C: D3F30030 0CC22D2A
	v_mfma_f32_16x16x32_fp8_fp8 v[48:51], a[44:45], v[24:25], v[48:51]// 00000000E644: D3F30030 0CC2312C
	v_mfma_f32_16x16x32_fp8_fp8 v[48:51], a[46:47], v[26:27], v[48:51]// 00000000E64C: D3F30030 0CC2352E
	v_mfma_f32_16x16x32_fp8_fp8 v[52:55], a[48:49], v[20:21], 0// 00000000E654: D3F30034 0A022930
	v_mfma_f32_16x16x32_fp8_fp8 v[52:55], a[50:51], v[22:23], v[52:55]// 00000000E65C: D3F30034 0CD22D32
	v_mfma_f32_16x16x32_fp8_fp8 v[52:55], a[52:53], v[24:25], v[52:55]// 00000000E664: D3F30034 0CD23134
	v_mfma_f32_16x16x32_fp8_fp8 v[52:55], a[54:55], v[26:27], v[52:55]// 00000000E66C: D3F30034 0CD23536
	v_mfma_f32_16x16x32_fp8_fp8 v[56:59], a[56:57], v[20:21], 0// 00000000E674: D3F30038 0A022938
	v_mfma_f32_16x16x32_fp8_fp8 v[56:59], a[58:59], v[22:23], v[56:59]// 00000000E67C: D3F30038 0CE22D3A
	v_mfma_f32_16x16x32_fp8_fp8 v[56:59], a[60:61], v[24:25], v[56:59]// 00000000E684: D3F30038 0CE2313C
	v_mfma_f32_16x16x32_fp8_fp8 v[56:59], a[62:63], v[26:27], v[56:59]// 00000000E68C: D3F30038 0CE2353E
	s_waitcnt vmcnt(8)                                         // 00000000E694: BF8C0F78
	v_pk_mul_f32 v[28:29], v[124:125], v[28:29]                // 00000000E698: D3B1401C 1802397C
	v_pk_mul_f32 v[30:31], v[124:125], v[30:31]                // 00000000E6A0: D3B1401E 18023D7C
	v_mul_f32_dpp v28, v129, v28 row_newbcast:0 row_mask:0xf bank_mask:0xf// 00000000E6A8: 0A3838FA FF015081
	v_mul_f32_dpp v29, v129, v29 row_newbcast:1 row_mask:0xf bank_mask:0xf// 00000000E6B0: 0A3A3AFA FF015181
	v_mul_f32_dpp v30, v129, v30 row_newbcast:2 row_mask:0xf bank_mask:0xf// 00000000E6B8: 0A3C3CFA FF015281
	v_mul_f32_dpp v31, v129, v31 row_newbcast:3 row_mask:0xf bank_mask:0xf// 00000000E6C0: 0A3E3EFA FF015381
	v_pk_mul_f32 v[32:33], v[124:125], v[32:33]                // 00000000E6C8: D3B14020 1802417C
	v_pk_mul_f32 v[34:35], v[124:125], v[34:35]                // 00000000E6D0: D3B14022 1802457C
	v_mul_f32_dpp v32, v129, v32 row_newbcast:4 row_mask:0xf bank_mask:0xf// 00000000E6D8: 0A4040FA FF015481
	v_mul_f32_dpp v33, v129, v33 row_newbcast:5 row_mask:0xf bank_mask:0xf// 00000000E6E0: 0A4242FA FF015581
	v_mul_f32_dpp v34, v129, v34 row_newbcast:6 row_mask:0xf bank_mask:0xf// 00000000E6E8: 0A4444FA FF015681
	v_mul_f32_dpp v35, v129, v35 row_newbcast:7 row_mask:0xf bank_mask:0xf// 00000000E6F0: 0A4646FA FF015781
	v_pk_mul_f32 v[36:37], v[124:125], v[36:37]                // 00000000E6F8: D3B14024 1802497C
	v_pk_mul_f32 v[38:39], v[124:125], v[38:39]                // 00000000E700: D3B14026 18024D7C
	v_mul_f32_dpp v36, v129, v36 row_newbcast:8 row_mask:0xf bank_mask:0xf// 00000000E708: 0A4848FA FF015881
	v_mul_f32_dpp v37, v129, v37 row_newbcast:9 row_mask:0xf bank_mask:0xf// 00000000E710: 0A4A4AFA FF015981
	v_mul_f32_dpp v38, v129, v38 row_newbcast:10 row_mask:0xf bank_mask:0xf// 00000000E718: 0A4C4CFA FF015A81
	v_mul_f32_dpp v39, v129, v39 row_newbcast:11 row_mask:0xf bank_mask:0xf// 00000000E720: 0A4E4EFA FF015B81
	v_pk_mul_f32 v[40:41], v[124:125], v[40:41]                // 00000000E728: D3B14028 1802517C
	v_pk_mul_f32 v[42:43], v[124:125], v[42:43]                // 00000000E730: D3B1402A 1802557C
	v_mul_f32_dpp v40, v129, v40 row_newbcast:12 row_mask:0xf bank_mask:0xf// 00000000E738: 0A5050FA FF015C81
	v_mul_f32_dpp v41, v129, v41 row_newbcast:13 row_mask:0xf bank_mask:0xf// 00000000E740: 0A5252FA FF015D81
	v_mul_f32_dpp v42, v129, v42 row_newbcast:14 row_mask:0xf bank_mask:0xf// 00000000E748: 0A5454FA FF015E81
	v_mul_f32_dpp v43, v129, v43 row_newbcast:15 row_mask:0xf bank_mask:0xf// 00000000E750: 0A5656FA FF015F81
	v_pk_mul_f32 v[44:45], v[126:127], v[44:45]                // 00000000E758: D3B1402C 1802597E
	v_pk_mul_f32 v[46:47], v[126:127], v[46:47]                // 00000000E760: D3B1402E 18025D7E
	v_mul_f32_dpp v44, v129, v44 row_newbcast:0 row_mask:0xf bank_mask:0xf// 00000000E768: 0A5858FA FF015081
	v_mul_f32_dpp v45, v129, v45 row_newbcast:1 row_mask:0xf bank_mask:0xf// 00000000E770: 0A5A5AFA FF015181
	v_mul_f32_dpp v46, v129, v46 row_newbcast:2 row_mask:0xf bank_mask:0xf// 00000000E778: 0A5C5CFA FF015281
	v_mul_f32_dpp v47, v129, v47 row_newbcast:3 row_mask:0xf bank_mask:0xf// 00000000E780: 0A5E5EFA FF015381
	v_pk_mul_f32 v[48:49], v[126:127], v[48:49]                // 00000000E788: D3B14030 1802617E
	v_pk_mul_f32 v[50:51], v[126:127], v[50:51]                // 00000000E790: D3B14032 1802657E
	v_mul_f32_dpp v48, v129, v48 row_newbcast:4 row_mask:0xf bank_mask:0xf// 00000000E798: 0A6060FA FF015481
	v_mul_f32_dpp v49, v129, v49 row_newbcast:5 row_mask:0xf bank_mask:0xf// 00000000E7A0: 0A6262FA FF015581
	v_mul_f32_dpp v50, v129, v50 row_newbcast:6 row_mask:0xf bank_mask:0xf// 00000000E7A8: 0A6464FA FF015681
	v_mul_f32_dpp v51, v129, v51 row_newbcast:7 row_mask:0xf bank_mask:0xf// 00000000E7B0: 0A6666FA FF015781
	v_pk_mul_f32 v[52:53], v[126:127], v[52:53]                // 00000000E7B8: D3B14034 1802697E
	v_pk_mul_f32 v[54:55], v[126:127], v[54:55]                // 00000000E7C0: D3B14036 18026D7E
	v_mul_f32_dpp v52, v129, v52 row_newbcast:8 row_mask:0xf bank_mask:0xf// 00000000E7C8: 0A6868FA FF015881
	v_mul_f32_dpp v53, v129, v53 row_newbcast:9 row_mask:0xf bank_mask:0xf// 00000000E7D0: 0A6A6AFA FF015981
	v_mul_f32_dpp v54, v129, v54 row_newbcast:10 row_mask:0xf bank_mask:0xf// 00000000E7D8: 0A6C6CFA FF015A81
	v_mul_f32_dpp v55, v129, v55 row_newbcast:11 row_mask:0xf bank_mask:0xf// 00000000E7E0: 0A6E6EFA FF015B81
	v_pk_mul_f32 v[56:57], v[126:127], v[56:57]                // 00000000E7E8: D3B14038 1802717E
	v_pk_mul_f32 v[58:59], v[126:127], v[58:59]                // 00000000E7F0: D3B1403A 1802757E
	v_mul_f32_dpp v56, v129, v56 row_newbcast:12 row_mask:0xf bank_mask:0xf// 00000000E7F8: 0A7070FA FF015C81
	v_mul_f32_dpp v57, v129, v57 row_newbcast:13 row_mask:0xf bank_mask:0xf// 00000000E800: 0A7272FA FF015D81
	v_mul_f32_dpp v58, v129, v58 row_newbcast:14 row_mask:0xf bank_mask:0xf// 00000000E808: 0A7474FA FF015E81
	v_mul_f32_dpp v59, v129, v59 row_newbcast:15 row_mask:0xf bank_mask:0xf// 00000000E810: 0A7676FA FF015F81
	v_add_u32_e32 v180, s49, v190                              // 00000000E818: 69697C31
	v_add_u32_e32 v181, 0, v180                                // 00000000E81C: 696B6880
	v_cmp_lt_u32_e64 s[92:93], v181, v188                      // 00000000E820: D0C9005C 000379B5
	s_nop 0                                                    // 00000000E828: BF800000
	v_cndmask_b32_e64 v28, v191, v28, s[92:93]                 // 00000000E82C: D100001C 017239BF
	v_add_u32_e32 v181, 1, v180                                // 00000000E834: 696B6881
	v_cmp_lt_u32_e64 s[92:93], v181, v188                      // 00000000E838: D0C9005C 000379B5
	s_nop 0                                                    // 00000000E840: BF800000
	v_cndmask_b32_e64 v29, v191, v29, s[92:93]                 // 00000000E844: D100001D 01723BBF
	v_add_u32_e32 v181, 2, v180                                // 00000000E84C: 696B6882
	v_cmp_lt_u32_e64 s[92:93], v181, v188                      // 00000000E850: D0C9005C 000379B5
	s_nop 0                                                    // 00000000E858: BF800000
	v_cndmask_b32_e64 v30, v191, v30, s[92:93]                 // 00000000E85C: D100001E 01723DBF
	v_add_u32_e32 v181, 3, v180                                // 00000000E864: 696B6883
	v_cmp_lt_u32_e64 s[92:93], v181, v188                      // 00000000E868: D0C9005C 000379B5
	s_nop 0                                                    // 00000000E870: BF800000
	v_cndmask_b32_e64 v31, v191, v31, s[92:93]                 // 00000000E874: D100001F 01723FBF
	v_add_u32_e32 v181, 64, v180                               // 00000000E87C: 696B68C0
	v_cmp_lt_u32_e64 s[92:93], v181, v188                      // 00000000E880: D0C9005C 000379B5
	s_nop 0                                                    // 00000000E888: BF800000
	v_cndmask_b32_e64 v32, v191, v32, s[92:93]                 // 00000000E88C: D1000020 017241BF
	v_add_u32_e32 v181, 0x41, v180                             // 00000000E894: 696B68FF 00000041
	v_cmp_lt_u32_e64 s[92:93], v181, v188                      // 00000000E89C: D0C9005C 000379B5
	s_nop 0                                                    // 00000000E8A4: BF800000
	v_cndmask_b32_e64 v33, v191, v33, s[92:93]                 // 00000000E8A8: D1000021 017243BF
	v_add_u32_e32 v181, 0x42, v180                             // 00000000E8B0: 696B68FF 00000042
	v_cmp_lt_u32_e64 s[92:93], v181, v188                      // 00000000E8B8: D0C9005C 000379B5
	s_nop 0                                                    // 00000000E8C0: BF800000
	v_cndmask_b32_e64 v34, v191, v34, s[92:93]                 // 00000000E8C4: D1000022 017245BF
	v_add_u32_e32 v181, 0x43, v180                             // 00000000E8CC: 696B68FF 00000043
	v_cmp_lt_u32_e64 s[92:93], v181, v188                      // 00000000E8D4: D0C9005C 000379B5
	s_nop 0                                                    // 00000000E8DC: BF800000
	v_cndmask_b32_e64 v35, v191, v35, s[92:93]                 // 00000000E8E0: D1000023 017247BF
	v_add_u32_e32 v181, 0x80, v180                             // 00000000E8E8: 696B68FF 00000080
	v_cmp_lt_u32_e64 s[92:93], v181, v188                      // 00000000E8F0: D0C9005C 000379B5
	s_nop 0                                                    // 00000000E8F8: BF800000
	v_cndmask_b32_e64 v36, v191, v36, s[92:93]                 // 00000000E8FC: D1000024 017249BF
	v_add_u32_e32 v181, 0x81, v180                             // 00000000E904: 696B68FF 00000081
	v_cmp_lt_u32_e64 s[92:93], v181, v188                      // 00000000E90C: D0C9005C 000379B5
	s_nop 0                                                    // 00000000E914: BF800000
	v_cndmask_b32_e64 v37, v191, v37, s[92:93]                 // 00000000E918: D1000025 01724BBF
	v_add_u32_e32 v181, 0x82, v180                             // 00000000E920: 696B68FF 00000082
	v_cmp_lt_u32_e64 s[92:93], v181, v188                      // 00000000E928: D0C9005C 000379B5
	s_nop 0                                                    // 00000000E930: BF800000
	v_cndmask_b32_e64 v38, v191, v38, s[92:93]                 // 00000000E934: D1000026 01724DBF
	v_add_u32_e32 v181, 0x83, v180                             // 00000000E93C: 696B68FF 00000083
	v_cmp_lt_u32_e64 s[92:93], v181, v188                      // 00000000E944: D0C9005C 000379B5
	s_nop 0                                                    // 00000000E94C: BF800000
	v_cndmask_b32_e64 v39, v191, v39, s[92:93]                 // 00000000E950: D1000027 01724FBF
	v_add_u32_e32 v181, 0xc0, v180                             // 00000000E958: 696B68FF 000000C0
	v_cmp_lt_u32_e64 s[92:93], v181, v188                      // 00000000E960: D0C9005C 000379B5
	s_nop 0                                                    // 00000000E968: BF800000
	v_cndmask_b32_e64 v40, v191, v40, s[92:93]                 // 00000000E96C: D1000028 017251BF
	v_add_u32_e32 v181, 0xc1, v180                             // 00000000E974: 696B68FF 000000C1
	v_cmp_lt_u32_e64 s[92:93], v181, v188                      // 00000000E97C: D0C9005C 000379B5
	s_nop 0                                                    // 00000000E984: BF800000
	v_cndmask_b32_e64 v41, v191, v41, s[92:93]                 // 00000000E988: D1000029 017253BF
	v_add_u32_e32 v181, 0xc2, v180                             // 00000000E990: 696B68FF 000000C2
	v_cmp_lt_u32_e64 s[92:93], v181, v188                      // 00000000E998: D0C9005C 000379B5
	s_nop 0                                                    // 00000000E9A0: BF800000
	v_cndmask_b32_e64 v42, v191, v42, s[92:93]                 // 00000000E9A4: D100002A 017255BF
	v_add_u32_e32 v181, 0xc3, v180                             // 00000000E9AC: 696B68FF 000000C3
	v_cmp_lt_u32_e64 s[92:93], v181, v188                      // 00000000E9B4: D0C9005C 000379B5
	s_nop 0                                                    // 00000000E9BC: BF800000
	v_cndmask_b32_e64 v43, v191, v43, s[92:93]                 // 00000000E9C0: D100002B 017257BF
	v_add_u32_e32 v181, 0, v180                                // 00000000E9C8: 696B6880
	v_cmp_lt_u32_e64 s[92:93], v181, v189                      // 00000000E9CC: D0C9005C 00037BB5
	s_nop 0                                                    // 00000000E9D4: BF800000
	v_cndmask_b32_e64 v44, v191, v44, s[92:93]                 // 00000000E9D8: D100002C 017259BF
	v_add_u32_e32 v181, 1, v180                                // 00000000E9E0: 696B6881
	v_cmp_lt_u32_e64 s[92:93], v181, v189                      // 00000000E9E4: D0C9005C 00037BB5
	s_nop 0                                                    // 00000000E9EC: BF800000
	v_cndmask_b32_e64 v45, v191, v45, s[92:93]                 // 00000000E9F0: D100002D 01725BBF
	v_add_u32_e32 v181, 2, v180                                // 00000000E9F8: 696B6882
	v_cmp_lt_u32_e64 s[92:93], v181, v189                      // 00000000E9FC: D0C9005C 00037BB5
	s_nop 0                                                    // 00000000EA04: BF800000
	v_cndmask_b32_e64 v46, v191, v46, s[92:93]                 // 00000000EA08: D100002E 01725DBF
	v_add_u32_e32 v181, 3, v180                                // 00000000EA10: 696B6883
	v_cmp_lt_u32_e64 s[92:93], v181, v189                      // 00000000EA14: D0C9005C 00037BB5
	s_nop 0                                                    // 00000000EA1C: BF800000
	v_cndmask_b32_e64 v47, v191, v47, s[92:93]                 // 00000000EA20: D100002F 01725FBF
	v_add_u32_e32 v181, 64, v180                               // 00000000EA28: 696B68C0
	v_cmp_lt_u32_e64 s[92:93], v181, v189                      // 00000000EA2C: D0C9005C 00037BB5
	s_nop 0                                                    // 00000000EA34: BF800000
	v_cndmask_b32_e64 v48, v191, v48, s[92:93]                 // 00000000EA38: D1000030 017261BF
	v_add_u32_e32 v181, 0x41, v180                             // 00000000EA40: 696B68FF 00000041
	v_cmp_lt_u32_e64 s[92:93], v181, v189                      // 00000000EA48: D0C9005C 00037BB5
	s_nop 0                                                    // 00000000EA50: BF800000
	v_cndmask_b32_e64 v49, v191, v49, s[92:93]                 // 00000000EA54: D1000031 017263BF
	v_add_u32_e32 v181, 0x42, v180                             // 00000000EA5C: 696B68FF 00000042
	v_cmp_lt_u32_e64 s[92:93], v181, v189                      // 00000000EA64: D0C9005C 00037BB5
	s_nop 0                                                    // 00000000EA6C: BF800000
	v_cndmask_b32_e64 v50, v191, v50, s[92:93]                 // 00000000EA70: D1000032 017265BF
	v_add_u32_e32 v181, 0x43, v180                             // 00000000EA78: 696B68FF 00000043
	v_cmp_lt_u32_e64 s[92:93], v181, v189                      // 00000000EA80: D0C9005C 00037BB5
	s_nop 0                                                    // 00000000EA88: BF800000
	v_cndmask_b32_e64 v51, v191, v51, s[92:93]                 // 00000000EA8C: D1000033 017267BF
	v_add_u32_e32 v181, 0x80, v180                             // 00000000EA94: 696B68FF 00000080
	v_cmp_lt_u32_e64 s[92:93], v181, v189                      // 00000000EA9C: D0C9005C 00037BB5
	s_nop 0                                                    // 00000000EAA4: BF800000
	v_cndmask_b32_e64 v52, v191, v52, s[92:93]                 // 00000000EAA8: D1000034 017269BF
	v_add_u32_e32 v181, 0x81, v180                             // 00000000EAB0: 696B68FF 00000081
	v_cmp_lt_u32_e64 s[92:93], v181, v189                      // 00000000EAB8: D0C9005C 00037BB5
	s_nop 0                                                    // 00000000EAC0: BF800000
	v_cndmask_b32_e64 v53, v191, v53, s[92:93]                 // 00000000EAC4: D1000035 01726BBF
	v_add_u32_e32 v181, 0x82, v180                             // 00000000EACC: 696B68FF 00000082
	v_cmp_lt_u32_e64 s[92:93], v181, v189                      // 00000000EAD4: D0C9005C 00037BB5
	s_nop 0                                                    // 00000000EADC: BF800000
	v_cndmask_b32_e64 v54, v191, v54, s[92:93]                 // 00000000EAE0: D1000036 01726DBF
	v_add_u32_e32 v181, 0x83, v180                             // 00000000EAE8: 696B68FF 00000083
	v_cmp_lt_u32_e64 s[92:93], v181, v189                      // 00000000EAF0: D0C9005C 00037BB5
	s_nop 0                                                    // 00000000EAF8: BF800000
	v_cndmask_b32_e64 v55, v191, v55, s[92:93]                 // 00000000EAFC: D1000037 01726FBF
	v_add_u32_e32 v181, 0xc0, v180                             // 00000000EB04: 696B68FF 000000C0
	v_cmp_lt_u32_e64 s[92:93], v181, v189                      // 00000000EB0C: D0C9005C 00037BB5
	s_nop 0                                                    // 00000000EB14: BF800000
	v_cndmask_b32_e64 v56, v191, v56, s[92:93]                 // 00000000EB18: D1000038 017271BF
	v_add_u32_e32 v181, 0xc1, v180                             // 00000000EB20: 696B68FF 000000C1
	v_cmp_lt_u32_e64 s[92:93], v181, v189                      // 00000000EB28: D0C9005C 00037BB5
	s_nop 0                                                    // 00000000EB30: BF800000
	v_cndmask_b32_e64 v57, v191, v57, s[92:93]                 // 00000000EB34: D1000039 017273BF
	v_add_u32_e32 v181, 0xc2, v180                             // 00000000EB3C: 696B68FF 000000C2
	v_cmp_lt_u32_e64 s[92:93], v181, v189                      // 00000000EB44: D0C9005C 00037BB5
	s_nop 0                                                    // 00000000EB4C: BF800000
	v_cndmask_b32_e64 v58, v191, v58, s[92:93]                 // 00000000EB50: D100003A 017275BF
	v_add_u32_e32 v181, 0xc3, v180                             // 00000000EB58: 696B68FF 000000C3
	v_cmp_lt_u32_e64 s[92:93], v181, v189                      // 00000000EB60: D0C9005C 00037BB5
	s_nop 0                                                    // 00000000EB68: BF800000
	v_cndmask_b32_e64 v59, v191, v59, s[92:93]                 // 00000000EB6C: D100003B 017277BF
	v_mov_b32_e32 v146, v28                                    // 00000000EB74: 7F24031C
	v_max3_f32 v146, v28, v29, v146                            // 00000000EB78: D1D30092 064A3B1C
	v_max3_f32 v146, v30, v31, v146                            // 00000000EB80: D1D30092 064A3F1E
	v_max3_f32 v146, v32, v33, v146                            // 00000000EB88: D1D30092 064A4320
	v_max3_f32 v146, v34, v35, v146                            // 00000000EB90: D1D30092 064A4722
	v_max3_f32 v146, v36, v37, v146                            // 00000000EB98: D1D30092 064A4B24
	v_max3_f32 v146, v38, v39, v146                            // 00000000EBA0: D1D30092 064A4F26
	v_max3_f32 v146, v40, v41, v146                            // 00000000EBA8: D1D30092 064A5328
	v_max3_f32 v146, v42, v43, v146                            // 00000000EBB0: D1D30092 064A572A
	v_mov_b32_e32 v147, v44                                    // 00000000EBB8: 7F26032C
	v_max3_f32 v147, v44, v45, v147                            // 00000000EBBC: D1D30093 064E5B2C
	v_max3_f32 v147, v46, v47, v147                            // 00000000EBC4: D1D30093 064E5F2E
	v_max3_f32 v147, v48, v49, v147                            // 00000000EBCC: D1D30093 064E6330
	v_max3_f32 v147, v50, v51, v147                            // 00000000EBD4: D1D30093 064E6732
	v_max3_f32 v147, v52, v53, v147                            // 00000000EBDC: D1D30093 064E6B34
	v_max3_f32 v147, v54, v55, v147                            // 00000000EBE4: D1D30093 064E6F36
	v_max3_f32 v147, v56, v57, v147                            // 00000000EBEC: D1D30093 064E7338
	v_max3_f32 v147, v58, v59, v147                            // 00000000EBF4: D1D30093 064E773A
	ds_write_b64 v210, v[146:147]                              // 00000000EBFC: D89A0000 000092D2
	v_pk_mul_f32 v[108:109], v[140:141], v[108:109]            // 00000000EC04: D3B1406C 1802D98C
	v_pk_mul_f32 v[110:111], v[140:141], v[110:111]            // 00000000EC0C: D3B1406E 1802DD8C
	v_pk_mul_f32 v[112:113], v[140:141], v[112:113]            // 00000000EC14: D3B14070 1802E18C
	v_pk_mul_f32 v[114:115], v[140:141], v[114:115]            // 00000000EC1C: D3B14072 1802E58C
	v_pk_mul_f32 v[116:117], v[142:143], v[116:117]            // 00000000EC24: D3B14074 1802E98E
	v_pk_mul_f32 v[118:119], v[142:143], v[118:119]            // 00000000EC2C: D3B14076 1802ED8E
	v_pk_mul_f32 v[120:121], v[142:143], v[120:121]            // 00000000EC34: D3B14078 1802F18E
	v_pk_mul_f32 v[122:123], v[142:143], v[122:123]            // 00000000EC3C: D3B1407A 1802F58E
	s_waitcnt lgkmcnt(0)                                       // 00000000EC44: BF8CC07F
	s_barrier                                                  // 00000000EC48: BF8A0000
	ds_read_b64 v[148:149], v211                               // 00000000EC4C: D8EC0000 940000D3
	ds_read_b64 v[150:151], v211 offset:128                    // 00000000EC54: D8EC0080 960000D3
	ds_read_b64 v[152:153], v211 offset:256                    // 00000000EC5C: D8EC0100 980000D3
	ds_read_b64 v[154:155], v211 offset:384                    // 00000000EC64: D8EC0180 9A0000D3
	ds_read_b64 v[156:157], v211 offset:512                    // 00000000EC6C: D8EC0200 9C0000D3
	ds_read_b64 v[158:159], v211 offset:640                    // 00000000EC74: D8EC0280 9E0000D3
	ds_read_b64 v[160:161], v211 offset:768                    // 00000000EC7C: D8EC0300 A00000D3
	ds_read_b64 v[162:163], v211 offset:896                    // 00000000EC84: D8EC0380 A20000D3
	ds_read_b64 v[164:165], v211 offset:1024                   // 00000000EC8C: D8EC0400 A40000D3
	ds_read_b64 v[166:167], v211 offset:1152                   // 00000000EC94: D8EC0480 A60000D3
	ds_read_b64 v[168:169], v211 offset:1280                   // 00000000EC9C: D8EC0500 A80000D3
	ds_read_b64 v[170:171], v211 offset:1408                   // 00000000ECA4: D8EC0580 AA0000D3
	ds_read_b64 v[172:173], v211 offset:1536                   // 00000000ECAC: D8EC0600 AC0000D3
	ds_read_b64 v[174:175], v211 offset:1664                   // 00000000ECB4: D8EC0680 AE0000D3
	ds_read_b64 v[176:177], v211 offset:1792                   // 00000000ECBC: D8EC0700 B00000D3
	ds_read_b64 v[178:179], v211 offset:1920                   // 00000000ECC4: D8EC0780 B20000D3
	v_pk_mul_f32 v[92:93], v[132:133], v[92:93]                // 00000000ECCC: D3B1405C 1802B984
	v_pk_mul_f32 v[94:95], v[132:133], v[94:95]                // 00000000ECD4: D3B1405E 1802BD84
	v_pk_mul_f32 v[96:97], v[132:133], v[96:97]                // 00000000ECDC: D3B14060 1802C184
	v_pk_mul_f32 v[98:99], v[132:133], v[98:99]                // 00000000ECE4: D3B14062 1802C584
	v_pk_mul_f32 v[100:101], v[134:135], v[100:101]            // 00000000ECEC: D3B14064 1802C986
	v_pk_mul_f32 v[102:103], v[134:135], v[102:103]            // 00000000ECF4: D3B14066 1802CD86
	v_pk_mul_f32 v[104:105], v[134:135], v[104:105]            // 00000000ECFC: D3B14068 1802D186
	v_pk_mul_f32 v[106:107], v[134:135], v[106:107]            // 00000000ED04: D3B1406A 1802D586
	s_waitcnt lgkmcnt(0)                                       // 00000000ED0C: BF8CC07F
	v_max3_f32 v146, v148, v150, v146                          // 00000000ED10: D1D30092 064B2D94
	v_max3_f32 v147, v149, v151, v147                          // 00000000ED18: D1D30093 064F2F95
	v_max3_f32 v146, v152, v154, v146                          // 00000000ED20: D1D30092 064B3598
	v_max3_f32 v147, v153, v155, v147                          // 00000000ED28: D1D30093 064F3799
	v_max3_f32 v146, v156, v158, v146                          // 00000000ED30: D1D30092 064B3D9C
	v_max3_f32 v147, v157, v159, v147                          // 00000000ED38: D1D30093 064F3F9D
	v_max3_f32 v146, v160, v162, v146                          // 00000000ED40: D1D30092 064B45A0
	v_max3_f32 v147, v161, v163, v147                          // 00000000ED48: D1D30093 064F47A1
	v_max3_f32 v146, v164, v166, v146                          // 00000000ED50: D1D30092 064B4DA4
	v_max3_f32 v147, v165, v167, v147                          // 00000000ED58: D1D30093 064F4FA5
	v_max3_f32 v146, v168, v170, v146                          // 00000000ED60: D1D30092 064B55A8
	v_max3_f32 v147, v169, v171, v147                          // 00000000ED68: D1D30093 064F57A9
	v_max3_f32 v146, v172, v174, v146                          // 00000000ED70: D1D30092 064B5DAC
	v_max3_f32 v147, v173, v175, v147                          // 00000000ED78: D1D30093 064F5FAD
	v_max3_f32 v146, v176, v178, v146                          // 00000000ED80: D1D30092 064B65B0
	v_max3_f32 v147, v177, v179, v147                          // 00000000ED88: D1D30093 064F67B1
	v_max_f32_e32 v138, v146, v136                             // 00000000ED90: 17151192
	v_mul_f32_e64 v180, -s51, v138                             // 00000000ED94: D10500B4 20031433
	v_mov_b32_e32 v181, v180                                   // 00000000ED9C: 7F6A03B4
	v_pk_fma_f32 v[28:29], v[28:29], s[68:69], v[180:181]      // 00000000EDA0: D3B0401C 1ED0891C
	v_pk_fma_f32 v[30:31], v[30:31], s[68:69], v[180:181]      // 00000000EDA8: D3B0401E 1ED0891E
	v_exp_f32_e32 v28, v28                                     // 00000000EDB0: 7E38411C
	v_exp_f32_e32 v29, v29                                     // 00000000EDB4: 7E3A411D
	v_exp_f32_e32 v30, v30                                     // 00000000EDB8: 7E3C411E
	v_exp_f32_e32 v31, v31                                     // 00000000EDBC: 7E3E411F
	v_pk_fma_f32 v[32:33], v[32:33], s[68:69], v[180:181]      // 00000000EDC0: D3B04020 1ED08920
	v_pk_fma_f32 v[34:35], v[34:35], s[68:69], v[180:181]      // 00000000EDC8: D3B04022 1ED08922
	v_exp_f32_e32 v32, v32                                     // 00000000EDD0: 7E404120
	v_exp_f32_e32 v33, v33                                     // 00000000EDD4: 7E424121
	v_exp_f32_e32 v34, v34                                     // 00000000EDD8: 7E444122
	v_exp_f32_e32 v35, v35                                     // 00000000EDDC: 7E464123
	v_pk_fma_f32 v[36:37], v[36:37], s[68:69], v[180:181]      // 00000000EDE0: D3B04024 1ED08924
	v_pk_fma_f32 v[38:39], v[38:39], s[68:69], v[180:181]      // 00000000EDE8: D3B04026 1ED08926
	v_exp_f32_e32 v36, v36                                     // 00000000EDF0: 7E484124
	v_exp_f32_e32 v37, v37                                     // 00000000EDF4: 7E4A4125
	v_exp_f32_e32 v38, v38                                     // 00000000EDF8: 7E4C4126
	v_exp_f32_e32 v39, v39                                     // 00000000EDFC: 7E4E4127
	v_pk_fma_f32 v[40:41], v[40:41], s[68:69], v[180:181]      // 00000000EE00: D3B04028 1ED08928
	v_pk_fma_f32 v[42:43], v[42:43], s[68:69], v[180:181]      // 00000000EE08: D3B0402A 1ED0892A
	v_exp_f32_e32 v40, v40                                     // 00000000EE10: 7E504128
	v_exp_f32_e32 v41, v41                                     // 00000000EE14: 7E524129
	v_exp_f32_e32 v42, v42                                     // 00000000EE18: 7E54412A
	v_exp_f32_e32 v43, v43                                     // 00000000EE1C: 7E56412B
	v_max_f32_e32 v139, v147, v137                             // 00000000EE20: 17171393
	v_mul_f32_e64 v180, -s51, v139                             // 00000000EE24: D10500B4 20031633
	v_mov_b32_e32 v181, v180                                   // 00000000EE2C: 7F6A03B4
	v_pk_fma_f32 v[44:45], v[44:45], s[68:69], v[180:181]      // 00000000EE30: D3B0402C 1ED0892C
	v_pk_fma_f32 v[46:47], v[46:47], s[68:69], v[180:181]      // 00000000EE38: D3B0402E 1ED0892E
	v_exp_f32_e32 v44, v44                                     // 00000000EE40: 7E58412C
	v_exp_f32_e32 v45, v45                                     // 00000000EE44: 7E5A412D
	v_exp_f32_e32 v46, v46                                     // 00000000EE48: 7E5C412E
	v_exp_f32_e32 v47, v47                                     // 00000000EE4C: 7E5E412F
	v_pk_fma_f32 v[48:49], v[48:49], s[68:69], v[180:181]      // 00000000EE50: D3B04030 1ED08930
	v_pk_fma_f32 v[50:51], v[50:51], s[68:69], v[180:181]      // 00000000EE58: D3B04032 1ED08932
	v_exp_f32_e32 v48, v48                                     // 00000000EE60: 7E604130
	v_exp_f32_e32 v49, v49                                     // 00000000EE64: 7E624131
	v_exp_f32_e32 v50, v50                                     // 00000000EE68: 7E644132
	v_exp_f32_e32 v51, v51                                     // 00000000EE6C: 7E664133
	v_pk_fma_f32 v[52:53], v[52:53], s[68:69], v[180:181]      // 00000000EE70: D3B04034 1ED08934
	v_pk_fma_f32 v[54:55], v[54:55], s[68:69], v[180:181]      // 00000000EE78: D3B04036 1ED08936
	v_exp_f32_e32 v52, v52                                     // 00000000EE80: 7E684134
	v_exp_f32_e32 v53, v53                                     // 00000000EE84: 7E6A4135
	v_exp_f32_e32 v54, v54                                     // 00000000EE88: 7E6C4136
	v_exp_f32_e32 v55, v55                                     // 00000000EE8C: 7E6E4137
	v_pk_fma_f32 v[56:57], v[56:57], s[68:69], v[180:181]      // 00000000EE90: D3B04038 1ED08938
	v_pk_fma_f32 v[58:59], v[58:59], s[68:69], v[180:181]      // 00000000EE98: D3B0403A 1ED0893A
	v_exp_f32_e32 v56, v56                                     // 00000000EEA0: 7E704138
	v_exp_f32_e32 v57, v57                                     // 00000000EEA4: 7E724139
	v_exp_f32_e32 v58, v58                                     // 00000000EEA8: 7E74413A
	v_exp_f32_e32 v59, v59                                     // 00000000EEAC: 7E76413B
	v_mul_f32_dpp v60, v131, v28 row_newbcast:0 row_mask:0xf bank_mask:0xf// 00000000EEB0: 0A7838FA FF015083
	v_mul_f32_dpp v61, v131, v29 row_newbcast:1 row_mask:0xf bank_mask:0xf// 00000000EEB8: 0A7A3AFA FF015183
	v_mul_f32_dpp v62, v131, v30 row_newbcast:2 row_mask:0xf bank_mask:0xf// 00000000EEC0: 0A7C3CFA FF015283
	v_mul_f32_dpp v63, v131, v31 row_newbcast:3 row_mask:0xf bank_mask:0xf// 00000000EEC8: 0A7E3EFA FF015383
	v_mul_f32_dpp v64, v131, v32 row_newbcast:4 row_mask:0xf bank_mask:0xf// 00000000EED0: 0A8040FA FF015483
	v_mul_f32_dpp v65, v131, v33 row_newbcast:5 row_mask:0xf bank_mask:0xf// 00000000EED8: 0A8242FA FF015583
	v_mul_f32_dpp v66, v131, v34 row_newbcast:6 row_mask:0xf bank_mask:0xf// 00000000EEE0: 0A8444FA FF015683
	v_mul_f32_dpp v67, v131, v35 row_newbcast:7 row_mask:0xf bank_mask:0xf// 00000000EEE8: 0A8646FA FF015783
	v_mul_f32_dpp v68, v131, v36 row_newbcast:8 row_mask:0xf bank_mask:0xf// 00000000EEF0: 0A8848FA FF015883
	v_mul_f32_dpp v69, v131, v37 row_newbcast:9 row_mask:0xf bank_mask:0xf// 00000000EEF8: 0A8A4AFA FF015983
	v_mul_f32_dpp v70, v131, v38 row_newbcast:10 row_mask:0xf bank_mask:0xf// 00000000EF00: 0A8C4CFA FF015A83
	v_mul_f32_dpp v71, v131, v39 row_newbcast:11 row_mask:0xf bank_mask:0xf// 00000000EF08: 0A8E4EFA FF015B83
	v_mul_f32_dpp v72, v131, v40 row_newbcast:12 row_mask:0xf bank_mask:0xf// 00000000EF10: 0A9050FA FF015C83
	v_mul_f32_dpp v73, v131, v41 row_newbcast:13 row_mask:0xf bank_mask:0xf// 00000000EF18: 0A9252FA FF015D83
	v_mul_f32_dpp v74, v131, v42 row_newbcast:14 row_mask:0xf bank_mask:0xf// 00000000EF20: 0A9454FA FF015E83
	v_mul_f32_dpp v75, v131, v43 row_newbcast:15 row_mask:0xf bank_mask:0xf// 00000000EF28: 0A9656FA FF015F83
	v_mul_f32_dpp v76, v131, v44 row_newbcast:0 row_mask:0xf bank_mask:0xf// 00000000EF30: 0A9858FA FF015083
	v_mul_f32_dpp v77, v131, v45 row_newbcast:1 row_mask:0xf bank_mask:0xf// 00000000EF38: 0A9A5AFA FF015183
	v_mul_f32_dpp v78, v131, v46 row_newbcast:2 row_mask:0xf bank_mask:0xf// 00000000EF40: 0A9C5CFA FF015283
	v_mul_f32_dpp v79, v131, v47 row_newbcast:3 row_mask:0xf bank_mask:0xf// 00000000EF48: 0A9E5EFA FF015383
	v_mul_f32_dpp v80, v131, v48 row_newbcast:4 row_mask:0xf bank_mask:0xf// 00000000EF50: 0AA060FA FF015483
	v_mul_f32_dpp v81, v131, v49 row_newbcast:5 row_mask:0xf bank_mask:0xf// 00000000EF58: 0AA262FA FF015583
	v_mul_f32_dpp v82, v131, v50 row_newbcast:6 row_mask:0xf bank_mask:0xf// 00000000EF60: 0AA464FA FF015683
	v_mul_f32_dpp v83, v131, v51 row_newbcast:7 row_mask:0xf bank_mask:0xf// 00000000EF68: 0AA666FA FF015783
	v_mul_f32_dpp v84, v131, v52 row_newbcast:8 row_mask:0xf bank_mask:0xf// 00000000EF70: 0AA868FA FF015883
	v_mul_f32_dpp v85, v131, v53 row_newbcast:9 row_mask:0xf bank_mask:0xf// 00000000EF78: 0AAA6AFA FF015983
	v_mul_f32_dpp v86, v131, v54 row_newbcast:10 row_mask:0xf bank_mask:0xf// 00000000EF80: 0AAC6CFA FF015A83
	v_mul_f32_dpp v87, v131, v55 row_newbcast:11 row_mask:0xf bank_mask:0xf// 00000000EF88: 0AAE6EFA FF015B83
	v_mul_f32_dpp v88, v131, v56 row_newbcast:12 row_mask:0xf bank_mask:0xf// 00000000EF90: 0AB070FA FF015C83
	v_mul_f32_dpp v89, v131, v57 row_newbcast:13 row_mask:0xf bank_mask:0xf// 00000000EF98: 0AB272FA FF015D83
	v_mul_f32_dpp v90, v131, v58 row_newbcast:14 row_mask:0xf bank_mask:0xf// 00000000EFA0: 0AB474FA FF015E83
	v_mul_f32_dpp v91, v131, v59 row_newbcast:15 row_mask:0xf bank_mask:0xf// 00000000EFA8: 0AB676FA FF015F83
	v_mov_b32_e32 v146, 0x358637bd                             // 00000000EFB0: 7F2402FF 358637BD
	v_max3_f32 v146, |v60|, |v61|, v146                        // 00000000EFB8: D1D30392 064A7B3C
	v_max3_f32 v146, |v62|, |v63|, v146                        // 00000000EFC0: D1D30392 064A7F3E
	v_max3_f32 v146, |v64|, |v65|, v146                        // 00000000EFC8: D1D30392 064A8340
	v_max3_f32 v146, |v66|, |v67|, v146                        // 00000000EFD0: D1D30392 064A8742
	v_max3_f32 v146, |v68|, |v69|, v146                        // 00000000EFD8: D1D30392 064A8B44
	v_max3_f32 v146, |v70|, |v71|, v146                        // 00000000EFE0: D1D30392 064A8F46
	v_max3_f32 v146, |v72|, |v73|, v146                        // 00000000EFE8: D1D30392 064A9348
	v_max3_f32 v146, |v74|, |v75|, v146                        // 00000000EFF0: D1D30392 064A974A
	v_mov_b32_e32 v147, 0x358637bd                             // 00000000EFF8: 7F2602FF 358637BD
	v_max3_f32 v147, |v76|, |v77|, v147                        // 00000000F000: D1D30393 064E9B4C
	v_max3_f32 v147, |v78|, |v79|, v147                        // 00000000F008: D1D30393 064E9F4E
	v_max3_f32 v147, |v80|, |v81|, v147                        // 00000000F010: D1D30393 064EA350
	v_max3_f32 v147, |v82|, |v83|, v147                        // 00000000F018: D1D30393 064EA752
	v_max3_f32 v147, |v84|, |v85|, v147                        // 00000000F020: D1D30393 064EAB54
	v_max3_f32 v147, |v86|, |v87|, v147                        // 00000000F028: D1D30393 064EAF56
	v_max3_f32 v147, |v88|, |v89|, v147                        // 00000000F030: D1D30393 064EB358
	v_max3_f32 v147, |v90|, |v91|, v147                        // 00000000F038: D1D30393 064EB75A
	ds_write_b64 v210, v[146:147] offset:2304                  // 00000000F040: D89A0900 000092D2
	v_sub_f32_e32 v140, v136, v138                             // 00000000F048: 05191588
	v_cmp_eq_u32_e64 s[92:93], v191, v136                      // 00000000F04C: D0CA005C 000311BF
	s_nop 0                                                    // 00000000F054: BF800000
	v_cndmask_b32_e64 v140, v140, 0, s[92:93]                  // 00000000F058: D100008C 0171018C
	v_mov_b32_e32 v136, v138                                   // 00000000F060: 7F10038A
	v_mul_f32_e32 v140, s51, v140                              // 00000000F064: 0B191833
	v_exp_f32_e32 v140, v140                                   // 00000000F068: 7F18418C
	v_sub_f32_e32 v142, v137, v139                             // 00000000F06C: 051D1789
	v_cmp_eq_u32_e64 s[92:93], v191, v137                      // 00000000F070: D0CA005C 000313BF
	s_nop 0                                                    // 00000000F078: BF800000
	v_cndmask_b32_e64 v142, v142, 0, s[92:93]                  // 00000000F07C: D100008E 0171018E
	v_mov_b32_e32 v137, v139                                   // 00000000F084: 7F12038B
	v_mul_f32_e32 v142, s51, v142                              // 00000000F088: 0B1D1C33
	v_exp_f32_e32 v142, v142                                   // 00000000F08C: 7F1C418E
	v_mov_b32_e32 v141, v140                                   // 00000000F090: 7F1A038C
	v_mov_b32_e32 v143, v142                                   // 00000000F094: 7F1E038E
	s_waitcnt lgkmcnt(0)                                       // 00000000F098: BF8CC07F
	s_barrier                                                  // 00000000F09C: BF8A0000
	ds_read_b64 v[148:149], v211 offset:2304                   // 00000000F0A0: D8EC0900 940000D3
	ds_read_b64 v[150:151], v211 offset:2432                   // 00000000F0A8: D8EC0980 960000D3
	ds_read_b64 v[152:153], v211 offset:2560                   // 00000000F0B0: D8EC0A00 980000D3
	ds_read_b64 v[154:155], v211 offset:2688                   // 00000000F0B8: D8EC0A80 9A0000D3
	ds_read_b64 v[156:157], v211 offset:2816                   // 00000000F0C0: D8EC0B00 9C0000D3
	ds_read_b64 v[158:159], v211 offset:2944                   // 00000000F0C8: D8EC0B80 9E0000D3
	ds_read_b64 v[160:161], v211 offset:3072                   // 00000000F0D0: D8EC0C00 A00000D3
	ds_read_b64 v[162:163], v211 offset:3200                   // 00000000F0D8: D8EC0C80 A20000D3
	ds_read_b64 v[164:165], v211 offset:3328                   // 00000000F0E0: D8EC0D00 A40000D3
	ds_read_b64 v[166:167], v211 offset:3456                   // 00000000F0E8: D8EC0D80 A60000D3
	ds_read_b64 v[168:169], v211 offset:3584                   // 00000000F0F0: D8EC0E00 A80000D3
	ds_read_b64 v[170:171], v211 offset:3712                   // 00000000F0F8: D8EC0E80 AA0000D3
	ds_read_b64 v[172:173], v211 offset:3840                   // 00000000F100: D8EC0F00 AC0000D3
	ds_read_b64 v[174:175], v211 offset:3968                   // 00000000F108: D8EC0F80 AE0000D3
	ds_read_b64 v[176:177], v211 offset:4096                   // 00000000F110: D8EC1000 B00000D3
	ds_read_b64 v[178:179], v211 offset:4224                   // 00000000F118: D8EC1080 B20000D3
	v_mul_f32_e32 v144, v140, v144                             // 00000000F120: 0B21218C
	v_add_f32_e32 v144, v28, v144                              // 00000000F124: 0321211C
	v_add_f32_e32 v144, v29, v144                              // 00000000F128: 0321211D
	v_add_f32_e32 v144, v30, v144                              // 00000000F12C: 0321211E
	v_add_f32_e32 v144, v31, v144                              // 00000000F130: 0321211F
	v_add_f32_e32 v144, v32, v144                              // 00000000F134: 03212120
	v_add_f32_e32 v144, v33, v144                              // 00000000F138: 03212121
	v_add_f32_e32 v144, v34, v144                              // 00000000F13C: 03212122
	v_add_f32_e32 v144, v35, v144                              // 00000000F140: 03212123
	v_add_f32_e32 v144, v36, v144                              // 00000000F144: 03212124
	v_add_f32_e32 v144, v37, v144                              // 00000000F148: 03212125
	v_add_f32_e32 v144, v38, v144                              // 00000000F14C: 03212126
	v_add_f32_e32 v144, v39, v144                              // 00000000F150: 03212127
	v_add_f32_e32 v144, v40, v144                              // 00000000F154: 03212128
	v_add_f32_e32 v144, v41, v144                              // 00000000F158: 03212129
	v_add_f32_e32 v144, v42, v144                              // 00000000F15C: 0321212A
	v_add_f32_e32 v144, v43, v144                              // 00000000F160: 0321212B
	v_mul_f32_e32 v145, v142, v145                             // 00000000F164: 0B23238E
	v_add_f32_e32 v145, v44, v145                              // 00000000F168: 0323232C
	v_add_f32_e32 v145, v45, v145                              // 00000000F16C: 0323232D
	v_add_f32_e32 v145, v46, v145                              // 00000000F170: 0323232E
	v_add_f32_e32 v145, v47, v145                              // 00000000F174: 0323232F
	v_add_f32_e32 v145, v48, v145                              // 00000000F178: 03232330
	v_add_f32_e32 v145, v49, v145                              // 00000000F17C: 03232331
	v_add_f32_e32 v145, v50, v145                              // 00000000F180: 03232332
	v_add_f32_e32 v145, v51, v145                              // 00000000F184: 03232333
	v_add_f32_e32 v145, v52, v145                              // 00000000F188: 03232334
	v_add_f32_e32 v145, v53, v145                              // 00000000F18C: 03232335
	v_add_f32_e32 v145, v54, v145                              // 00000000F190: 03232336
	v_add_f32_e32 v145, v55, v145                              // 00000000F194: 03232337
	v_add_f32_e32 v145, v56, v145                              // 00000000F198: 03232338
	v_add_f32_e32 v145, v57, v145                              // 00000000F19C: 03232339
	v_add_f32_e32 v145, v58, v145                              // 00000000F1A0: 0323233A
	v_add_f32_e32 v145, v59, v145                              // 00000000F1A4: 0323233B
	s_waitcnt lgkmcnt(0)                                       // 00000000F1A8: BF8CC07F
	v_max3_f32 v146, v148, v150, v146                          // 00000000F1AC: D1D30092 064B2D94
	v_max3_f32 v147, v149, v151, v147                          // 00000000F1B4: D1D30093 064F2F95
	v_max3_f32 v146, v152, v154, v146                          // 00000000F1BC: D1D30092 064B3598
	v_max3_f32 v147, v153, v155, v147                          // 00000000F1C4: D1D30093 064F3799
	v_max3_f32 v146, v156, v158, v146                          // 00000000F1CC: D1D30092 064B3D9C
	v_max3_f32 v147, v157, v159, v147                          // 00000000F1D4: D1D30093 064F3F9D
	v_max3_f32 v146, v160, v162, v146                          // 00000000F1DC: D1D30092 064B45A0
	v_max3_f32 v147, v161, v163, v147                          // 00000000F1E4: D1D30093 064F47A1
	v_max3_f32 v146, v164, v166, v146                          // 00000000F1EC: D1D30092 064B4DA4
	v_max3_f32 v147, v165, v167, v147                          // 00000000F1F4: D1D30093 064F4FA5
	v_max3_f32 v146, v168, v170, v146                          // 00000000F1FC: D1D30092 064B55A8
	v_max3_f32 v147, v169, v171, v147                          // 00000000F204: D1D30093 064F57A9
	v_max3_f32 v146, v172, v174, v146                          // 00000000F20C: D1D30092 064B5DAC
	v_max3_f32 v147, v173, v175, v147                          // 00000000F214: D1D30093 064F5FAD
	v_max3_f32 v146, v176, v178, v146                          // 00000000F21C: D1D30092 064B65B0
	v_max3_f32 v147, v177, v179, v147                          // 00000000F224: D1D30093 064F67B1
	v_rcp_f32_e32 v146, v146                                   // 00000000F22C: 7F244592
	v_rcp_f32_e32 v147, v147                                   // 00000000F230: 7F264593
	v_mul_f32_e32 v146, 0x43700000, v146                       // 00000000F234: 0B2524FF 43700000
	v_mul_f32_e32 v147, 0x43700000, v147                       // 00000000F23C: 0B2726FF 43700000
	v_mul_f32_e32 v28, v146, v60                               // 00000000F244: 0A387992
	v_mul_f32_e32 v29, v146, v61                               // 00000000F248: 0A3A7B92
	v_mul_f32_e32 v30, v146, v62                               // 00000000F24C: 0A3C7D92
	v_mul_f32_e32 v31, v146, v63                               // 00000000F250: 0A3E7F92
	v_mul_f32_e32 v32, v146, v64                               // 00000000F254: 0A408192
	v_mul_f32_e32 v33, v146, v65                               // 00000000F258: 0A428392
	v_mul_f32_e32 v34, v146, v66                               // 00000000F25C: 0A448592
	v_mul_f32_e32 v35, v146, v67                               // 00000000F260: 0A468792
	v_mul_f32_e32 v36, v146, v68                               // 00000000F264: 0A488992
	v_mul_f32_e32 v37, v146, v69                               // 00000000F268: 0A4A8B92
	v_mul_f32_e32 v38, v146, v70                               // 00000000F26C: 0A4C8D92
	v_mul_f32_e32 v39, v146, v71                               // 00000000F270: 0A4E8F92
	v_mul_f32_e32 v40, v146, v72                               // 00000000F274: 0A509192
	v_mul_f32_e32 v41, v146, v73                               // 00000000F278: 0A529392
	v_mul_f32_e32 v42, v146, v74                               // 00000000F27C: 0A549592
	v_mul_f32_e32 v43, v146, v75                               // 00000000F280: 0A569792
	v_mul_f32_e32 v44, v147, v76                               // 00000000F284: 0A589993
	v_mul_f32_e32 v45, v147, v77                               // 00000000F288: 0A5A9B93
	v_mul_f32_e32 v46, v147, v78                               // 00000000F28C: 0A5C9D93
	v_mul_f32_e32 v47, v147, v79                               // 00000000F290: 0A5E9F93
	v_mul_f32_e32 v48, v147, v80                               // 00000000F294: 0A60A193
	v_mul_f32_e32 v49, v147, v81                               // 00000000F298: 0A62A393
	v_mul_f32_e32 v50, v147, v82                               // 00000000F29C: 0A64A593
	v_mul_f32_e32 v51, v147, v83                               // 00000000F2A0: 0A66A793
	v_mul_f32_e32 v52, v147, v84                               // 00000000F2A4: 0A68A993
	v_mul_f32_e32 v53, v147, v85                               // 00000000F2A8: 0A6AAB93
	v_mul_f32_e32 v54, v147, v86                               // 00000000F2AC: 0A6CAD93
	v_mul_f32_e32 v55, v147, v87                               // 00000000F2B0: 0A6EAF93
	v_mul_f32_e32 v56, v147, v88                               // 00000000F2B4: 0A70B193
	v_mul_f32_e32 v57, v147, v89                               // 00000000F2B8: 0A72B393
	v_mul_f32_e32 v58, v147, v90                               // 00000000F2BC: 0A74B593
	v_mul_f32_e32 v59, v147, v91                               // 00000000F2C0: 0A76B793
	v_cvt_pk_fp8_f32 v28, v28, v29                             // 00000000F2C4: D2A2001C 00023B1C
	v_cvt_pk_fp8_f32 v28, v30, v31 op_sel:[0,0,1]              // 00000000F2CC: D2A2401C 00023F1E
	v_cvt_pk_fp8_f32 v29, v32, v33                             // 00000000F2D4: D2A2001D 00024320
	v_cvt_pk_fp8_f32 v29, v34, v35 op_sel:[0,0,1]              // 00000000F2DC: D2A2401D 00024722
	v_cvt_pk_fp8_f32 v30, v36, v37                             // 00000000F2E4: D2A2001E 00024B24
	v_cvt_pk_fp8_f32 v30, v38, v39 op_sel:[0,0,1]              // 00000000F2EC: D2A2401E 00024F26
	v_cvt_pk_fp8_f32 v31, v40, v41                             // 00000000F2F4: D2A2001F 00025328
	v_cvt_pk_fp8_f32 v31, v42, v43 op_sel:[0,0,1]              // 00000000F2FC: D2A2401F 0002572A
	v_cvt_pk_fp8_f32 v32, v44, v45                             // 00000000F304: D2A20020 00025B2C
	v_cvt_pk_fp8_f32 v32, v46, v47 op_sel:[0,0,1]              // 00000000F30C: D2A24020 00025F2E
	v_cvt_pk_fp8_f32 v33, v48, v49                             // 00000000F314: D2A20021 00026330
	v_cvt_pk_fp8_f32 v33, v50, v51 op_sel:[0,0,1]              // 00000000F31C: D2A24021 00026732
	v_cvt_pk_fp8_f32 v34, v52, v53                             // 00000000F324: D2A20022 00026B34
	v_cvt_pk_fp8_f32 v34, v54, v55 op_sel:[0,0,1]              // 00000000F32C: D2A24022 00026F36
	v_cvt_pk_fp8_f32 v35, v56, v57                             // 00000000F334: D2A20023 00027338
	v_cvt_pk_fp8_f32 v35, v58, v59 op_sel:[0,0,1]              // 00000000F33C: D2A24023 0002773A
	ds_write_b32 v212, v28 offset:4608                         // 00000000F344: D81A1200 00001CD4
	ds_write_b32 v212, v29 offset:5632                         // 00000000F34C: D81A1600 00001DD4
	ds_write_b32 v212, v30 offset:6656                         // 00000000F354: D81A1A00 00001ED4
	ds_write_b32 v212, v31 offset:7680                         // 00000000F35C: D81A1E00 00001FD4
	ds_write_b32 v212, v32 offset:8704                         // 00000000F364: D81A2200 000020D4
	ds_write_b32 v212, v33 offset:9728                         // 00000000F36C: D81A2600 000021D4
	ds_write_b32 v212, v34 offset:10752                        // 00000000F374: D81A2A00 000022D4
	ds_write_b32 v212, v35 offset:11776                        // 00000000F37C: D81A2E00 000023D4
	v_rcp_f32_e32 v132, v146                                   // 00000000F384: 7F084592
	v_rcp_f32_e32 v134, v147                                   // 00000000F388: 7F0C4593
	v_mov_b32_e32 v133, v132                                   // 00000000F38C: 7F0A0384
	v_mov_b32_e32 v135, v134                                   // 00000000F390: 7F0E0386
	v_pk_add_f32 v[108:109], v[108:109], v[92:93]              // 00000000F394: D3B2406C 1802B96C
	v_pk_add_f32 v[110:111], v[110:111], v[94:95]              // 00000000F39C: D3B2406E 1802BD6E
	v_pk_add_f32 v[112:113], v[112:113], v[96:97]              // 00000000F3A4: D3B24070 1802C170
	v_pk_add_f32 v[114:115], v[114:115], v[98:99]              // 00000000F3AC: D3B24072 1802C572
	v_pk_add_f32 v[116:117], v[116:117], v[100:101]            // 00000000F3B4: D3B24074 1802C974
	v_pk_add_f32 v[118:119], v[118:119], v[102:103]            // 00000000F3BC: D3B24076 1802CD76
	v_pk_add_f32 v[120:121], v[120:121], v[104:105]            // 00000000F3C4: D3B24078 1802D178
	v_pk_add_f32 v[122:123], v[122:123], v[106:107]            // 00000000F3CC: D3B2407A 1802D57A
	s_waitcnt lgkmcnt(0)                                       // 00000000F3D4: BF8CC07F
	s_barrier                                                  // 00000000F3D8: BF8A0000
	ds_read_b128 v[28:31], v213 offset:4608                    // 00000000F3DC: D9FE1200 1C0000D5
	ds_read_b128 v[32:35], v213 offset:5632                    // 00000000F3E4: D9FE1600 200000D5
	ds_read_b128 v[36:39], v213 offset:6656                    // 00000000F3EC: D9FE1A00 240000D5
	ds_read_b128 v[40:43], v213 offset:7680                    // 00000000F3F4: D9FE1E00 280000D5
	ds_read_b128 v[44:47], v213 offset:8704                    // 00000000F3FC: D9FE2200 2C0000D5
	ds_read_b128 v[48:51], v213 offset:9728                    // 00000000F404: D9FE2600 300000D5
	ds_read_b128 v[52:55], v213 offset:10752                   // 00000000F40C: D9FE2A00 340000D5
	ds_read_b128 v[56:59], v213 offset:11776                   // 00000000F414: D9FE2E00 380000D5
	s_waitcnt vmcnt(0)                                         // 00000000F41C: BF8C0F70
	s_waitcnt lgkmcnt(7)                                       // 00000000F420: BF8CC77F
	v_mfma_f32_16x16x32_fp8_fp8 v[92:95], a[96:97], v[28:29], 0// 00000000F424: D3F3005C 0A023960
	v_mfma_f32_16x16x32_fp8_fp8 v[96:99], a[112:113], v[28:29], 0// 00000000F42C: D3F30060 0A023970
	v_mfma_f32_16x16x32_fp8_fp8 v[92:95], a[98:99], v[30:31], v[92:95]// 00000000F434: D3F3005C 0D723D62
	v_mfma_f32_16x16x32_fp8_fp8 v[96:99], a[114:115], v[30:31], v[96:99]// 00000000F43C: D3F30060 0D823D72
	s_waitcnt lgkmcnt(6)                                       // 00000000F444: BF8CC67F
	v_mfma_f32_16x16x32_fp8_fp8 v[92:95], a[100:101], v[32:33], v[92:95]// 00000000F448: D3F3005C 0D724164
	v_mfma_f32_16x16x32_fp8_fp8 v[96:99], a[116:117], v[32:33], v[96:99]// 00000000F450: D3F30060 0D824174
	v_mfma_f32_16x16x32_fp8_fp8 v[92:95], a[102:103], v[34:35], v[92:95]// 00000000F458: D3F3005C 0D724566
	v_mfma_f32_16x16x32_fp8_fp8 v[96:99], a[118:119], v[34:35], v[96:99]// 00000000F460: D3F30060 0D824576
	s_waitcnt lgkmcnt(5)                                       // 00000000F468: BF8CC57F
	v_mfma_f32_16x16x32_fp8_fp8 v[92:95], a[104:105], v[36:37], v[92:95]// 00000000F46C: D3F3005C 0D724968
	v_mfma_f32_16x16x32_fp8_fp8 v[96:99], a[120:121], v[36:37], v[96:99]// 00000000F474: D3F30060 0D824978
	v_mfma_f32_16x16x32_fp8_fp8 v[92:95], a[106:107], v[38:39], v[92:95]// 00000000F47C: D3F3005C 0D724D6A
	v_mfma_f32_16x16x32_fp8_fp8 v[96:99], a[122:123], v[38:39], v[96:99]// 00000000F484: D3F30060 0D824D7A
	s_waitcnt lgkmcnt(4)                                       // 00000000F48C: BF8CC47F
	v_mfma_f32_16x16x32_fp8_fp8 v[92:95], a[108:109], v[40:41], v[92:95]// 00000000F490: D3F3005C 0D72516C
	v_mfma_f32_16x16x32_fp8_fp8 v[96:99], a[124:125], v[40:41], v[96:99]// 00000000F498: D3F30060 0D82517C
	v_mfma_f32_16x16x32_fp8_fp8 v[92:95], a[110:111], v[42:43], v[92:95]// 00000000F4A0: D3F3005C 0D72556E
	v_mfma_f32_16x16x32_fp8_fp8 v[96:99], a[126:127], v[42:43], v[96:99]// 00000000F4A8: D3F30060 0D82557E
	s_waitcnt lgkmcnt(3)                                       // 00000000F4B0: BF8CC37F
	v_mfma_f32_16x16x32_fp8_fp8 v[100:103], a[96:97], v[44:45], 0// 00000000F4B4: D3F30064 0A025960
	v_mfma_f32_16x16x32_fp8_fp8 v[104:107], a[112:113], v[44:45], 0// 00000000F4BC: D3F30068 0A025970
	v_mfma_f32_16x16x32_fp8_fp8 v[100:103], a[98:99], v[46:47], v[100:103]// 00000000F4C4: D3F30064 0D925D62
	v_mfma_f32_16x16x32_fp8_fp8 v[104:107], a[114:115], v[46:47], v[104:107]// 00000000F4CC: D3F30068 0DA25D72
	s_waitcnt lgkmcnt(2)                                       // 00000000F4D4: BF8CC27F
	v_mfma_f32_16x16x32_fp8_fp8 v[100:103], a[100:101], v[48:49], v[100:103]// 00000000F4D8: D3F30064 0D926164
	v_mfma_f32_16x16x32_fp8_fp8 v[104:107], a[116:117], v[48:49], v[104:107]// 00000000F4E0: D3F30068 0DA26174
	v_mfma_f32_16x16x32_fp8_fp8 v[100:103], a[102:103], v[50:51], v[100:103]// 00000000F4E8: D3F30064 0D926566
	v_mfma_f32_16x16x32_fp8_fp8 v[104:107], a[118:119], v[50:51], v[104:107]// 00000000F4F0: D3F30068 0DA26576
	s_waitcnt lgkmcnt(1)                                       // 00000000F4F8: BF8CC17F
	v_mfma_f32_16x16x32_fp8_fp8 v[100:103], a[104:105], v[52:53], v[100:103]// 00000000F4FC: D3F30064 0D926968
	v_mfma_f32_16x16x32_fp8_fp8 v[104:107], a[120:121], v[52:53], v[104:107]// 00000000F504: D3F30068 0DA26978
	v_mfma_f32_16x16x32_fp8_fp8 v[100:103], a[106:107], v[54:55], v[100:103]// 00000000F50C: D3F30064 0D926D6A
	v_mfma_f32_16x16x32_fp8_fp8 v[104:107], a[122:123], v[54:55], v[104:107]// 00000000F514: D3F30068 0DA26D7A
	s_waitcnt lgkmcnt(0)                                       // 00000000F51C: BF8CC07F
	v_mfma_f32_16x16x32_fp8_fp8 v[100:103], a[108:109], v[56:57], v[100:103]// 00000000F520: D3F30064 0D92716C
	v_mfma_f32_16x16x32_fp8_fp8 v[104:107], a[124:125], v[56:57], v[104:107]// 00000000F528: D3F30068 0DA2717C
	v_mfma_f32_16x16x32_fp8_fp8 v[100:103], a[110:111], v[58:59], v[100:103]// 00000000F530: D3F30064 0D92756E
	v_mfma_f32_16x16x32_fp8_fp8 v[104:107], a[126:127], v[58:59], v[104:107]// 00000000F538: D3F30068 0DA2757E

000000000000f540 <label_3510>:
	v_pk_mul_f32 v[108:109], v[140:141], v[108:109]            // 00000000F540: D3B1406C 1802D98C
	v_pk_mul_f32 v[110:111], v[140:141], v[110:111]            // 00000000F548: D3B1406E 1802DD8C
	v_pk_mul_f32 v[112:113], v[140:141], v[112:113]            // 00000000F550: D3B14070 1802E18C
	v_pk_mul_f32 v[114:115], v[140:141], v[114:115]            // 00000000F558: D3B14072 1802E58C
	v_pk_mul_f32 v[116:117], v[142:143], v[116:117]            // 00000000F560: D3B14074 1802E98E
	v_pk_mul_f32 v[118:119], v[142:143], v[118:119]            // 00000000F568: D3B14076 1802ED8E
	v_pk_mul_f32 v[120:121], v[142:143], v[120:121]            // 00000000F570: D3B14078 1802F18E
	v_pk_mul_f32 v[122:123], v[142:143], v[122:123]            // 00000000F578: D3B1407A 1802F58E
	ds_write_b64 v210, v[144:145]                              // 00000000F580: D89A0000 000090D2
	v_pk_mul_f32 v[92:93], v[132:133], v[92:93]                // 00000000F588: D3B1405C 1802B984
	v_pk_mul_f32 v[94:95], v[132:133], v[94:95]                // 00000000F590: D3B1405E 1802BD84
	v_pk_mul_f32 v[96:97], v[132:133], v[96:97]                // 00000000F598: D3B14060 1802C184
	v_pk_mul_f32 v[98:99], v[132:133], v[98:99]                // 00000000F5A0: D3B14062 1802C584
	v_pk_mul_f32 v[100:101], v[134:135], v[100:101]            // 00000000F5A8: D3B14064 1802C986
	v_pk_mul_f32 v[102:103], v[134:135], v[102:103]            // 00000000F5B0: D3B14066 1802CD86
	v_pk_mul_f32 v[104:105], v[134:135], v[104:105]            // 00000000F5B8: D3B14068 1802D186
	v_pk_mul_f32 v[106:107], v[134:135], v[106:107]            // 00000000F5C0: D3B1406A 1802D586
	s_waitcnt lgkmcnt(0)                                       // 00000000F5C8: BF8CC07F
	s_barrier                                                  // 00000000F5CC: BF8A0000
	ds_read_b64 v[148:149], v211                               // 00000000F5D0: D8EC0000 940000D3
	ds_read_b64 v[150:151], v211 offset:128                    // 00000000F5D8: D8EC0080 960000D3
	ds_read_b64 v[152:153], v211 offset:256                    // 00000000F5E0: D8EC0100 980000D3
	ds_read_b64 v[154:155], v211 offset:384                    // 00000000F5E8: D8EC0180 9A0000D3
	ds_read_b64 v[156:157], v211 offset:512                    // 00000000F5F0: D8EC0200 9C0000D3
	ds_read_b64 v[158:159], v211 offset:640                    // 00000000F5F8: D8EC0280 9E0000D3
	ds_read_b64 v[160:161], v211 offset:768                    // 00000000F600: D8EC0300 A00000D3
	ds_read_b64 v[162:163], v211 offset:896                    // 00000000F608: D8EC0380 A20000D3
	ds_read_b64 v[164:165], v211 offset:1024                   // 00000000F610: D8EC0400 A40000D3
	ds_read_b64 v[166:167], v211 offset:1152                   // 00000000F618: D8EC0480 A60000D3
	ds_read_b64 v[168:169], v211 offset:1280                   // 00000000F620: D8EC0500 A80000D3
	ds_read_b64 v[170:171], v211 offset:1408                   // 00000000F628: D8EC0580 AA0000D3
	ds_read_b64 v[172:173], v211 offset:1536                   // 00000000F630: D8EC0600 AC0000D3
	ds_read_b64 v[174:175], v211 offset:1664                   // 00000000F638: D8EC0680 AE0000D3
	ds_read_b64 v[176:177], v211 offset:1792                   // 00000000F640: D8EC0700 B00000D3
	ds_read_b64 v[178:179], v211 offset:1920                   // 00000000F648: D8EC0780 B20000D3
	v_pk_add_f32 v[108:109], v[108:109], v[92:93]              // 00000000F650: D3B2406C 1802B96C
	v_pk_add_f32 v[110:111], v[110:111], v[94:95]              // 00000000F658: D3B2406E 1802BD6E
	v_pk_add_f32 v[112:113], v[112:113], v[96:97]              // 00000000F660: D3B24070 1802C170
	v_pk_add_f32 v[114:115], v[114:115], v[98:99]              // 00000000F668: D3B24072 1802C572
	v_pk_add_f32 v[116:117], v[116:117], v[100:101]            // 00000000F670: D3B24074 1802C974
	v_pk_add_f32 v[118:119], v[118:119], v[102:103]            // 00000000F678: D3B24076 1802CD76
	v_pk_add_f32 v[120:121], v[120:121], v[104:105]            // 00000000F680: D3B24078 1802D178
	v_pk_add_f32 v[122:123], v[122:123], v[106:107]            // 00000000F688: D3B2407A 1802D57A
	s_waitcnt lgkmcnt(0)                                       // 00000000F690: BF8CC07F
	v_mov_b64_e32 v[144:145], 0                                // 00000000F694: 7F207080
	v_pk_add_f32 v[144:145], v[148:149], v[144:145]            // 00000000F698: D3B24090 18032194
	v_pk_add_f32 v[144:145], v[150:151], v[144:145]            // 00000000F6A0: D3B24090 18032196
	v_pk_add_f32 v[144:145], v[152:153], v[144:145]            // 00000000F6A8: D3B24090 18032198
	v_pk_add_f32 v[144:145], v[154:155], v[144:145]            // 00000000F6B0: D3B24090 1803219A
	v_pk_add_f32 v[144:145], v[156:157], v[144:145]            // 00000000F6B8: D3B24090 1803219C
	v_pk_add_f32 v[144:145], v[158:159], v[144:145]            // 00000000F6C0: D3B24090 1803219E
	v_pk_add_f32 v[144:145], v[160:161], v[144:145]            // 00000000F6C8: D3B24090 180321A0
	v_pk_add_f32 v[144:145], v[162:163], v[144:145]            // 00000000F6D0: D3B24090 180321A2
	v_pk_add_f32 v[144:145], v[164:165], v[144:145]            // 00000000F6D8: D3B24090 180321A4
	v_pk_add_f32 v[144:145], v[166:167], v[144:145]            // 00000000F6E0: D3B24090 180321A6
	v_pk_add_f32 v[144:145], v[168:169], v[144:145]            // 00000000F6E8: D3B24090 180321A8
	v_pk_add_f32 v[144:145], v[170:171], v[144:145]            // 00000000F6F0: D3B24090 180321AA
	v_pk_add_f32 v[144:145], v[172:173], v[144:145]            // 00000000F6F8: D3B24090 180321AC
	v_pk_add_f32 v[144:145], v[174:175], v[144:145]            // 00000000F700: D3B24090 180321AE
	v_pk_add_f32 v[144:145], v[176:177], v[144:145]            // 00000000F708: D3B24090 180321B0
	v_pk_add_f32 v[144:145], v[178:179], v[144:145]            // 00000000F710: D3B24090 180321B2
	v_rcp_f32_e32 v144, v144                                   // 00000000F718: 7F204590
	v_rcp_f32_e32 v145, v145                                   // 00000000F71C: 7F224591
	v_mul_f32_e32 v108, v144, v108                             // 00000000F720: 0AD8D990
	v_mul_f32_e32 v109, v144, v109                             // 00000000F724: 0ADADB90
	v_mul_f32_e32 v110, v144, v110                             // 00000000F728: 0ADCDD90
	v_mul_f32_e32 v111, v144, v111                             // 00000000F72C: 0ADEDF90
	v_mul_f32_e32 v112, v144, v112                             // 00000000F730: 0AE0E190
	v_mul_f32_e32 v113, v144, v113                             // 00000000F734: 0AE2E390
	v_mul_f32_e32 v114, v144, v114                             // 00000000F738: 0AE4E590
	v_mul_f32_e32 v115, v144, v115                             // 00000000F73C: 0AE6E790
	v_mul_f32_e32 v116, v145, v116                             // 00000000F740: 0AE8E991
	v_mul_f32_e32 v117, v145, v117                             // 00000000F744: 0AEAEB91
	v_mul_f32_e32 v118, v145, v118                             // 00000000F748: 0AECED91
	v_mul_f32_e32 v119, v145, v119                             // 00000000F74C: 0AEEEF91
	v_mul_f32_e32 v120, v145, v120                             // 00000000F750: 0AF0F191
	v_mul_f32_e32 v121, v145, v121                             // 00000000F754: 0AF2F391
	v_mul_f32_e32 v122, v145, v122                             // 00000000F758: 0AF4F591
	v_mul_f32_e32 v123, v145, v123                             // 00000000F75C: 0AF6F791
	v_cmp_u_f32_e64 s[92:93], v108, v108                       // 00000000F760: D048005C 0002D96C
	v_add3_u32 v184, v108, v187, 1                             // 00000000F768: D1FF00B8 0207776C
	v_cndmask_b32_e64 v180, v184, v186, s[92:93]               // 00000000F770: D10000B4 017375B8
	v_cmp_u_f32_e64 s[92:93], v109, v109                       // 00000000F778: D048005C 0002DB6D
	v_add3_u32 v184, v109, v187, 1                             // 00000000F780: D1FF00B8 0207776D
	v_cndmask_b32_e64 v181, v184, v186, s[92:93]               // 00000000F788: D10000B5 017375B8
	v_perm_b32 v108, v181, v180, s42                           // 00000000F790: D1ED006C 00AB69B5
	v_cmp_u_f32_e64 s[92:93], v110, v110                       // 00000000F798: D048005C 0002DD6E
	v_add3_u32 v184, v110, v187, 1                             // 00000000F7A0: D1FF00B8 0207776E
	v_cndmask_b32_e64 v180, v184, v186, s[92:93]               // 00000000F7A8: D10000B4 017375B8
	v_cmp_u_f32_e64 s[92:93], v111, v111                       // 00000000F7B0: D048005C 0002DF6F
	v_add3_u32 v184, v111, v187, 1                             // 00000000F7B8: D1FF00B8 0207776F
	v_cndmask_b32_e64 v181, v184, v186, s[92:93]               // 00000000F7C0: D10000B5 017375B8
	v_perm_b32 v109, v181, v180, s42                           // 00000000F7C8: D1ED006D 00AB69B5
	v_cmp_u_f32_e64 s[92:93], v112, v112                       // 00000000F7D0: D048005C 0002E170
	v_add3_u32 v184, v112, v187, 1                             // 00000000F7D8: D1FF00B8 02077770
	v_cndmask_b32_e64 v180, v184, v186, s[92:93]               // 00000000F7E0: D10000B4 017375B8
	v_cmp_u_f32_e64 s[92:93], v113, v113                       // 00000000F7E8: D048005C 0002E371
	v_add3_u32 v184, v113, v187, 1                             // 00000000F7F0: D1FF00B8 02077771
	v_cndmask_b32_e64 v181, v184, v186, s[92:93]               // 00000000F7F8: D10000B5 017375B8
	v_perm_b32 v110, v181, v180, s42                           // 00000000F800: D1ED006E 00AB69B5
	v_cmp_u_f32_e64 s[92:93], v114, v114                       // 00000000F808: D048005C 0002E572
	v_add3_u32 v184, v114, v187, 1                             // 00000000F810: D1FF00B8 02077772
	v_cndmask_b32_e64 v180, v184, v186, s[92:93]               // 00000000F818: D10000B4 017375B8
	v_cmp_u_f32_e64 s[92:93], v115, v115                       // 00000000F820: D048005C 0002E773
	v_add3_u32 v184, v115, v187, 1                             // 00000000F828: D1FF00B8 02077773
	v_cndmask_b32_e64 v181, v184, v186, s[92:93]               // 00000000F830: D10000B5 017375B8
	v_perm_b32 v111, v181, v180, s42                           // 00000000F838: D1ED006F 00AB69B5
	v_cmp_u_f32_e64 s[92:93], v116, v116                       // 00000000F840: D048005C 0002E974
	v_add3_u32 v184, v116, v187, 1                             // 00000000F848: D1FF00B8 02077774
	v_cndmask_b32_e64 v180, v184, v186, s[92:93]               // 00000000F850: D10000B4 017375B8
	v_cmp_u_f32_e64 s[92:93], v117, v117                       // 00000000F858: D048005C 0002EB75
	v_add3_u32 v184, v117, v187, 1                             // 00000000F860: D1FF00B8 02077775
	v_cndmask_b32_e64 v181, v184, v186, s[92:93]               // 00000000F868: D10000B5 017375B8
	v_perm_b32 v112, v181, v180, s42                           // 00000000F870: D1ED0070 00AB69B5
	v_cmp_u_f32_e64 s[92:93], v118, v118                       // 00000000F878: D048005C 0002ED76
	v_add3_u32 v184, v118, v187, 1                             // 00000000F880: D1FF00B8 02077776
	v_cndmask_b32_e64 v180, v184, v186, s[92:93]               // 00000000F888: D10000B4 017375B8
	v_cmp_u_f32_e64 s[92:93], v119, v119                       // 00000000F890: D048005C 0002EF77
	v_add3_u32 v184, v119, v187, 1                             // 00000000F898: D1FF00B8 02077777
	v_cndmask_b32_e64 v181, v184, v186, s[92:93]               // 00000000F8A0: D10000B5 017375B8
	v_perm_b32 v113, v181, v180, s42                           // 00000000F8A8: D1ED0071 00AB69B5
	v_cmp_u_f32_e64 s[92:93], v120, v120                       // 00000000F8B0: D048005C 0002F178
	v_add3_u32 v184, v120, v187, 1                             // 00000000F8B8: D1FF00B8 02077778
	v_cndmask_b32_e64 v180, v184, v186, s[92:93]               // 00000000F8C0: D10000B4 017375B8
	v_cmp_u_f32_e64 s[92:93], v121, v121                       // 00000000F8C8: D048005C 0002F379
	v_add3_u32 v184, v121, v187, 1                             // 00000000F8D0: D1FF00B8 02077779
	v_cndmask_b32_e64 v181, v184, v186, s[92:93]               // 00000000F8D8: D10000B5 017375B8
	v_perm_b32 v114, v181, v180, s42                           // 00000000F8E0: D1ED0072 00AB69B5
	v_cmp_u_f32_e64 s[92:93], v122, v122                       // 00000000F8E8: D048005C 0002F57A
	v_add3_u32 v184, v122, v187, 1                             // 00000000F8F0: D1FF00B8 0207777A
	v_cndmask_b32_e64 v180, v184, v186, s[92:93]               // 00000000F8F8: D10000B4 017375B8
	v_cmp_u_f32_e64 s[92:93], v123, v123                       // 00000000F900: D048005C 0002F77B
	v_add3_u32 v184, v123, v187, 1                             // 00000000F908: D1FF00B8 0207777B
	v_cndmask_b32_e64 v181, v184, v186, s[92:93]               // 00000000F910: D10000B5 017375B8
	v_perm_b32 v115, v181, v180, s42                           // 00000000F918: D1ED0073 00AB69B5
	ds_write_b64 v208, v[108:109] offset:4608                  // 00000000F920: D89A1200 00006CD0
	ds_write_b64 v208, v[110:111] offset:6912                  // 00000000F928: D89A1B00 00006ED0
	ds_write_b64 v208, v[112:113] offset:9216                  // 00000000F930: D89A2400 000070D0
	ds_write_b64 v208, v[114:115] offset:11520                 // 00000000F938: D89A2D00 000072D0
	s_waitcnt lgkmcnt(0)                                       // 00000000F940: BF8CC07F
	s_barrier                                                  // 00000000F944: BF8A0000
	ds_read_b128 v[108:111], v209 offset:4608                  // 00000000F948: D9FE1200 6C0000D1
	ds_read_b128 v[112:115], v209 offset:9216                  // 00000000F950: D9FE2400 700000D1
	s_waitcnt lgkmcnt(1)                                       // 00000000F958: BF8CC17F
	buffer_store_dwordx4 v[108:111], v194, s[4:7], 0 offen     // 00000000F95C: E07C1000 80016CC2
	s_waitcnt lgkmcnt(0)                                       // 00000000F964: BF8CC07F
	buffer_store_dwordx4 v[112:115], v195, s[4:7], 0 offen     // 00000000F968: E07C1000 800170C3
	s_waitcnt vmcnt(0) expcnt(0) lgkmcnt(0)                    // 00000000F970: BF8C0000
	s_endpgm                                                   // 00000000F974: BF810000
